;; amdgpu-corpus repo=ROCm/rocFFT kind=compiled arch=gfx950 opt=O3
	.text
	.amdgcn_target "amdgcn-amd-amdhsa--gfx950"
	.amdhsa_code_object_version 6
	.protected	bluestein_single_fwd_len357_dim1_sp_op_CI_CI ; -- Begin function bluestein_single_fwd_len357_dim1_sp_op_CI_CI
	.globl	bluestein_single_fwd_len357_dim1_sp_op_CI_CI
	.p2align	8
	.type	bluestein_single_fwd_len357_dim1_sp_op_CI_CI,@function
bluestein_single_fwd_len357_dim1_sp_op_CI_CI: ; @bluestein_single_fwd_len357_dim1_sp_op_CI_CI
; %bb.0:
	s_load_dwordx4 s[12:15], s[0:1], 0x28
	v_mul_u32_u24_e32 v1, 0xf10, v0
	v_lshrrev_b32_e32 v2, 16, v1
	v_mad_u64_u32 v[38:39], s[2:3], s2, 11, v[2:3]
	v_mov_b32_e32 v81, 0
	v_mov_b32_e32 v39, v81
	s_waitcnt lgkmcnt(0)
	v_cmp_gt_u64_e32 vcc, s[12:13], v[38:39]
	s_and_saveexec_b64 s[2:3], vcc
	s_cbranch_execz .LBB0_15
; %bb.1:
	s_load_dwordx4 s[4:7], s[0:1], 0x18
	s_load_dwordx2 s[12:13], s[0:1], 0x0
	v_mul_lo_u16_e32 v1, 17, v2
	v_sub_u16_e32 v80, v0, v1
	v_mov_b32_e32 v4, s14
	s_waitcnt lgkmcnt(0)
	s_load_dwordx4 s[8:11], s[4:5], 0x0
	v_mov_b32_e32 v5, s15
	v_lshlrev_b32_e32 v154, 3, v80
	global_load_dwordx2 v[72:73], v154, s[12:13]
	s_mov_b32 s4, 0xba2e8ba3
	s_waitcnt lgkmcnt(0)
	v_mad_u64_u32 v[0:1], s[2:3], s10, v38, 0
	v_mov_b32_e32 v2, v1
	v_mad_u64_u32 v[2:3], s[2:3], s11, v38, v[2:3]
	v_mov_b32_e32 v1, v2
	;; [unrolled: 2-line block ×3, first 2 shown]
	v_mad_u64_u32 v[6:7], s[2:3], s9, v80, v[6:7]
	s_mul_i32 s2, s9, 21
	s_mul_hi_u32 s3, s8, 21
	v_mov_b32_e32 v3, v6
	v_lshl_add_u64 v[0:1], v[0:1], 3, v[4:5]
	s_add_i32 s3, s3, s2
	s_mul_i32 s2, s8, 21
	v_lshl_add_u64 v[2:3], v[2:3], 3, v[0:1]
	s_lshl_b64 s[10:11], s[2:3], 3
	global_load_dwordx2 v[4:5], v[2:3], off
	v_lshl_add_u64 v[2:3], v[2:3], 0, s[10:11]
	global_load_dwordx2 v[6:7], v[2:3], off
	global_load_dwordx2 v[70:71], v154, s[12:13] offset:168
	v_lshl_add_u64 v[2:3], v[2:3], 0, s[10:11]
	global_load_dwordx2 v[68:69], v154, s[12:13] offset:336
	global_load_dwordx2 v[8:9], v[2:3], off
	v_lshl_add_u64 v[2:3], v[2:3], 0, s[10:11]
	global_load_dwordx2 v[10:11], v[2:3], off
	global_load_dwordx2 v[66:67], v154, s[12:13] offset:504
	v_lshl_add_u64 v[2:3], v[2:3], 0, s[10:11]
	global_load_dwordx2 v[12:13], v[2:3], off
	global_load_dwordx2 v[64:65], v154, s[12:13] offset:672
	;; [unrolled: 3-line block ×4, first 2 shown]
	v_lshl_add_u64 v[2:3], v[2:3], 0, s[10:11]
	global_load_dwordx2 v[58:59], v154, s[12:13] offset:1176
	global_load_dwordx2 v[18:19], v[2:3], off
	v_lshl_add_u64 v[2:3], v[2:3], 0, s[10:11]
	global_load_dwordx2 v[20:21], v[2:3], off
	global_load_dwordx2 v[56:57], v154, s[12:13] offset:1344
	v_lshl_add_u64 v[2:3], v[2:3], 0, s[10:11]
	global_load_dwordx2 v[22:23], v[2:3], off
	global_load_dwordx2 v[54:55], v154, s[12:13] offset:1512
	;; [unrolled: 3-line block ×3, first 2 shown]
	global_load_dwordx2 v[50:51], v154, s[12:13] offset:1848
	v_lshl_add_u64 v[2:3], v[2:3], 0, s[10:11]
	global_load_dwordx2 v[26:27], v[2:3], off
	v_lshl_add_u64 v[2:3], v[2:3], 0, s[10:11]
	global_load_dwordx2 v[28:29], v[2:3], off
	global_load_dwordx2 v[48:49], v154, s[12:13] offset:2016
	v_lshl_add_u64 v[2:3], v[2:3], 0, s[10:11]
	global_load_dwordx2 v[30:31], v[2:3], off
	global_load_dwordx2 v[46:47], v154, s[12:13] offset:2184
	;; [unrolled: 3-line block ×3, first 2 shown]
	v_mul_hi_u32 v36, v38, s4
	v_lshl_add_u64 v[2:3], v[2:3], 0, s[10:11]
	global_load_dwordx2 v[42:43], v154, s[12:13] offset:2520
	global_load_dwordx2 v[40:41], v154, s[12:13] offset:2688
	global_load_dwordx2 v[34:35], v[2:3], off
	v_lshrrev_b32_e32 v36, 3, v36
	v_mul_lo_u32 v36, v36, 11
	v_lshl_add_u64 v[2:3], v[2:3], 0, s[10:11]
	v_accvgpr_write_b32 a28, v38
	v_sub_u32_e32 v38, v38, v36
	global_load_dwordx2 v[36:37], v[2:3], off
	v_mov_b32_e32 v155, v81
	v_mul_u32_u24_e32 v193, 0x165, v38
	v_lshl_add_u64 v[38:39], s[12:13], 0, v[154:155]
	v_accvgpr_write_b32 a2, v38
	v_accvgpr_write_b32 a3, v39
	v_lshlrev_b32_e32 v90, 3, v193
	v_add_u32_e32 v192, v154, v90
	s_load_dwordx2 s[2:3], s[0:1], 0x38
	v_cmp_gt_u16_e32 vcc, 4, v80
	s_load_dwordx4 s[4:7], s[6:7], 0x0
	s_waitcnt vmcnt(33)
	v_accvgpr_write_b32 a38, v72
	v_accvgpr_write_b32 a39, v73
	s_waitcnt vmcnt(32)
	v_mul_f32_e32 v38, v5, v73
	v_mul_f32_e32 v39, v4, v73
	v_fmac_f32_e32 v38, v4, v72
	v_fma_f32 v39, v5, v72, -v39
	s_waitcnt vmcnt(30)
	v_mul_f32_e32 v4, v7, v71
	v_mul_f32_e32 v5, v6, v71
	v_fmac_f32_e32 v4, v6, v70
	v_fma_f32 v5, v7, v70, -v5
	ds_write2_b64 v192, v[38:39], v[4:5] offset1:21
	s_waitcnt vmcnt(28)
	v_mul_f32_e32 v4, v8, v69
	v_mul_f32_e32 v6, v9, v69
	v_fma_f32 v7, v9, v68, -v4
	s_waitcnt vmcnt(26)
	v_mul_f32_e32 v4, v11, v67
	v_mul_f32_e32 v5, v10, v67
	v_fmac_f32_e32 v6, v8, v68
	v_fmac_f32_e32 v4, v10, v66
	v_fma_f32 v5, v11, v66, -v5
	ds_write2_b64 v192, v[6:7], v[4:5] offset0:42 offset1:63
	s_waitcnt vmcnt(24)
	v_mul_f32_e32 v4, v13, v65
	v_mul_f32_e32 v5, v12, v65
	s_waitcnt vmcnt(22)
	v_mul_f32_e32 v6, v15, v63
	v_mul_f32_e32 v7, v14, v63
	v_fmac_f32_e32 v4, v12, v64
	v_fma_f32 v5, v13, v64, -v5
	v_fmac_f32_e32 v6, v14, v62
	v_fma_f32 v7, v15, v62, -v7
	ds_write2_b64 v192, v[4:5], v[6:7] offset0:84 offset1:105
	s_waitcnt vmcnt(20)
	v_mul_f32_e32 v4, v17, v61
	v_mul_f32_e32 v5, v16, v61
	s_waitcnt vmcnt(18)
	v_mul_f32_e32 v6, v19, v59
	v_mul_f32_e32 v7, v18, v59
	v_fmac_f32_e32 v4, v16, v60
	v_fma_f32 v5, v17, v60, -v5
	;; [unrolled: 11-line block ×4, first 2 shown]
	v_fmac_f32_e32 v6, v26, v50
	v_fma_f32 v7, v27, v50, -v7
	ds_write2_b64 v192, v[4:5], v[6:7] offset0:210 offset1:231
	s_waitcnt vmcnt(8)
	v_mul_f32_e32 v4, v28, v49
	v_mul_f32_e32 v6, v29, v49
	v_fma_f32 v7, v29, v48, -v4
	s_waitcnt vmcnt(6)
	v_mul_f32_e32 v8, v31, v47
	v_mul_f32_e32 v4, v30, v47
	v_fmac_f32_e32 v6, v28, v48
	v_fmac_f32_e32 v8, v30, v46
	v_fma_f32 v9, v31, v46, -v4
	v_add_u32_e32 v4, 0x400, v192
	s_waitcnt vmcnt(4)
	v_mul_f32_e32 v5, v32, v45
	ds_write2_b64 v4, v[6:7], v[8:9] offset0:124 offset1:145
	v_mul_f32_e32 v6, v33, v45
	v_fma_f32 v7, v33, v44, -v5
	s_waitcnt vmcnt(1)
	v_mul_f32_e32 v8, v35, v43
	v_mul_f32_e32 v5, v34, v43
	v_fmac_f32_e32 v6, v32, v44
	v_fmac_f32_e32 v8, v34, v42
	v_fma_f32 v9, v35, v42, -v5
	v_add_u32_e32 v5, 0x800, v192
	v_accvgpr_write_b32 a36, v70
	v_accvgpr_write_b32 a34, v68
	;; [unrolled: 1-line block ×15, first 2 shown]
	ds_write2_b64 v5, v[6:7], v[8:9] offset0:38 offset1:59
	s_waitcnt vmcnt(0)
	v_mul_f32_e32 v6, v37, v41
	v_mul_f32_e32 v7, v36, v41
	v_accvgpr_write_b32 a4, v40
	v_accvgpr_write_b32 a37, v71
	;; [unrolled: 1-line block ×16, first 2 shown]
	v_fmac_f32_e32 v6, v36, v40
	v_accvgpr_write_b32 a5, v41
	v_fma_f32 v7, v37, v40, -v7
	ds_write_b64 v192, v[6:7] offset:2688
	s_and_saveexec_b64 s[14:15], vcc
	s_cbranch_execz .LBB0_3
; %bb.2:
	v_mov_b32_e32 v6, 0xfffff608
	v_mad_u64_u32 v[2:3], s[16:17], s8, v6, v[2:3]
	s_mul_i32 s16, s9, 0xfffff608
	s_sub_i32 s16, s16, s8
	v_or_b32_e32 v15, 0x50, v80
	v_add_u32_e32 v3, s16, v3
	v_mad_u64_u32 v[12:13], s[16:17], s8, v15, 0
	global_load_dwordx2 v[6:7], v[2:3], off
	v_lshl_add_u64 v[2:3], v[2:3], 0, s[10:11]
	v_mov_b32_e32 v14, v13
	global_load_dwordx2 v[8:9], v[2:3], off
	v_lshl_add_u64 v[2:3], v[2:3], 0, s[10:11]
	v_mad_u64_u32 v[14:15], s[16:17], s9, v15, v[14:15]
	v_mov_b32_e32 v70, 0x150
	global_load_dwordx2 v[10:11], v[2:3], off
	v_mov_b32_e32 v13, v14
	v_accvgpr_read_b32 v73, a3
	v_mad_u64_u32 v[2:3], s[16:17], s8, v70, v[2:3]
	s_mul_i32 s18, s9, 0x150
	v_or_b32_e32 v31, 0xa4, v80
	v_lshl_add_u64 v[12:13], v[12:13], 3, v[0:1]
	v_accvgpr_read_b32 v72, a2
	v_add_u32_e32 v3, s18, v3
	v_mad_u64_u32 v[28:29], s[16:17], s8, v31, 0
	global_load_dwordx2 v[14:15], v[12:13], off
	global_load_dwordx2 v[16:17], v[72:73], off offset:136
	global_load_dwordx2 v[18:19], v[72:73], off offset:304
	;; [unrolled: 1-line block ×4, first 2 shown]
                                        ; kill: killed $vgpr12_vgpr13
	v_mov_b32_e32 v30, v29
	global_load_dwordx2 v[12:13], v[2:3], off
	v_lshl_add_u64 v[2:3], v[2:3], 0, s[10:11]
	global_load_dwordx2 v[24:25], v[2:3], off
	v_lshl_add_u64 v[2:3], v[2:3], 0, s[10:11]
	v_mad_u64_u32 v[30:31], s[16:17], s9, v31, v[30:31]
	global_load_dwordx2 v[26:27], v[2:3], off
	v_mov_b32_e32 v29, v30
	v_mad_u64_u32 v[2:3], s[16:17], s8, v70, v[2:3]
	v_or_b32_e32 v49, 0xf8, v80
	v_lshl_add_u64 v[28:29], v[28:29], 3, v[0:1]
	v_add_u32_e32 v3, s18, v3
	v_mad_u64_u32 v[46:47], s[16:17], s8, v49, 0
	global_load_dwordx2 v[32:33], v[72:73], off offset:808
	global_load_dwordx2 v[30:31], v[72:73], off offset:976
	global_load_dwordx2 v[34:35], v[28:29], off
	global_load_dwordx2 v[36:37], v[72:73], off offset:1144
	global_load_dwordx2 v[38:39], v[72:73], off offset:1312
                                        ; kill: killed $vgpr28_vgpr29
	v_mov_b32_e32 v48, v47
	global_load_dwordx2 v[28:29], v[2:3], off
	v_lshl_add_u64 v[2:3], v[2:3], 0, s[10:11]
	global_load_dwordx2 v[40:41], v[2:3], off
	v_lshl_add_u64 v[2:3], v[2:3], 0, s[10:11]
	v_mad_u64_u32 v[48:49], s[16:17], s9, v49, v[48:49]
	global_load_dwordx2 v[42:43], v[2:3], off
	v_mov_b32_e32 v47, v48
	v_mad_u64_u32 v[2:3], s[16:17], s8, v70, v[2:3]
	v_lshl_add_u64 v[46:47], v[46:47], 3, v[0:1]
	v_add_u32_e32 v3, s18, v3
	global_load_dwordx2 v[44:45], v[72:73], off offset:1480
	global_load_dwordx2 v[50:51], v[72:73], off offset:1648
	global_load_dwordx2 v[48:49], v[46:47], off
	global_load_dwordx2 v[52:53], v[72:73], off offset:1816
	global_load_dwordx2 v[54:55], v[72:73], off offset:1984
                                        ; kill: killed $vgpr46_vgpr47
	v_or_b32_e32 v67, 0x14c, v80
	global_load_dwordx2 v[46:47], v[2:3], off
	v_lshl_add_u64 v[2:3], v[2:3], 0, s[10:11]
	global_load_dwordx2 v[56:57], v[2:3], off
	v_lshl_add_u64 v[2:3], v[2:3], 0, s[10:11]
	v_mad_u64_u32 v[64:65], s[10:11], s8, v67, 0
	v_mov_b32_e32 v66, v65
	v_mad_u64_u32 v[66:67], s[10:11], s9, v67, v[66:67]
	global_load_dwordx2 v[58:59], v[72:73], off offset:2152
	global_load_dwordx2 v[60:61], v[2:3], off
	global_load_dwordx2 v[62:63], v[72:73], off offset:2320
	global_load_dwordx2 v[68:69], v[72:73], off offset:2488
	v_mov_b32_e32 v65, v66
	v_lshl_add_u64 v[0:1], v[64:65], 3, v[0:1]
	global_load_dwordx2 v[64:65], v[0:1], off
	global_load_dwordx2 v[66:67], v[72:73], off offset:2656
                                        ; kill: killed $vgpr0_vgpr1
	v_mad_u64_u32 v[0:1], s[8:9], s8, v70, v[2:3]
	v_add_u32_e32 v1, s18, v1
	global_load_dwordx2 v[2:3], v[0:1], off
	global_load_dwordx2 v[70:71], v[72:73], off offset:2824
                                        ; kill: killed $vgpr0 killed $vgpr1
	s_waitcnt vmcnt(29)
	v_mul_f32_e32 v0, v7, v17
	v_mul_f32_e32 v1, v6, v17
	v_fmac_f32_e32 v0, v6, v16
	v_fma_f32 v1, v7, v16, -v1
	s_waitcnt vmcnt(28)
	v_mul_f32_e32 v6, v9, v19
	v_mul_f32_e32 v7, v8, v19
	v_fmac_f32_e32 v6, v8, v18
	v_fma_f32 v7, v9, v18, -v7
	ds_write2_b64 v192, v[0:1], v[6:7] offset0:17 offset1:38
	s_waitcnt vmcnt(27)
	v_mul_f32_e32 v0, v11, v21
	v_mul_f32_e32 v1, v10, v21
	s_waitcnt vmcnt(26)
	v_mul_f32_e32 v6, v15, v23
	v_mul_f32_e32 v7, v14, v23
	v_fmac_f32_e32 v0, v10, v20
	v_fma_f32 v1, v11, v20, -v1
	v_fmac_f32_e32 v6, v14, v22
	v_fma_f32 v7, v15, v22, -v7
	ds_write2_b64 v192, v[0:1], v[6:7] offset0:59 offset1:80
	s_waitcnt vmcnt(21)
	v_mul_f32_e32 v6, v25, v31
	v_mul_f32_e32 v7, v24, v31
	;; [unrolled: 1-line block ×4, first 2 shown]
	v_fmac_f32_e32 v0, v12, v32
	v_fma_f32 v1, v13, v32, -v1
	v_fmac_f32_e32 v6, v24, v30
	v_fma_f32 v7, v25, v30, -v7
	ds_write2_b64 v192, v[0:1], v[6:7] offset0:101 offset1:122
	s_waitcnt vmcnt(19)
	v_mul_f32_e32 v0, v27, v37
	v_mul_f32_e32 v1, v26, v37
	s_waitcnt vmcnt(18)
	v_mul_f32_e32 v6, v35, v39
	v_mul_f32_e32 v7, v34, v39
	v_fmac_f32_e32 v0, v26, v36
	v_fma_f32 v1, v27, v36, -v1
	v_fmac_f32_e32 v6, v34, v38
	v_fma_f32 v7, v35, v38, -v7
	ds_write2_b64 v192, v[0:1], v[6:7] offset0:143 offset1:164
	s_waitcnt vmcnt(14)
	v_mul_f32_e32 v0, v29, v45
	v_mul_f32_e32 v1, v28, v45
	s_waitcnt vmcnt(13)
	v_mul_f32_e32 v6, v41, v51
	v_mul_f32_e32 v7, v40, v51
	;; [unrolled: 11-line block ×5, first 2 shown]
	v_fmac_f32_e32 v0, v60, v68
	v_fma_f32 v1, v61, v68, -v1
	v_fmac_f32_e32 v6, v64, v66
	v_fma_f32 v7, v65, v66, -v7
	ds_write2_b64 v5, v[0:1], v[6:7] offset0:55 offset1:76
	s_waitcnt vmcnt(0)
	v_mul_f32_e32 v0, v3, v71
	v_mul_f32_e32 v1, v2, v71
	v_fmac_f32_e32 v0, v2, v70
	v_fma_f32 v1, v3, v70, -v1
	ds_write_b64 v192, v[0:1] offset:2824
.LBB0_3:
	s_or_b64 exec, exec, s[14:15]
	s_waitcnt lgkmcnt(0)
	s_barrier
	ds_read2_b64 v[0:3], v192 offset1:21
	ds_read2_b64 v[60:63], v192 offset0:42 offset1:63
	ds_read2_b64 v[56:59], v192 offset0:84 offset1:105
	ds_read2_b64 v[52:55], v192 offset0:126 offset1:147
	ds_read2_b64 v[48:51], v192 offset0:168 offset1:189
	ds_read2_b64 v[44:47], v192 offset0:210 offset1:231
	ds_read2_b64 v[40:43], v4 offset0:124 offset1:145
	ds_read2_b64 v[36:39], v5 offset0:38 offset1:59
	ds_read_b64 v[18:19], v192 offset:2688
	s_load_dwordx2 s[0:1], s[0:1], 0x8
	v_mov_b32_e32 v4, 0
	v_mov_b32_e32 v5, 0
                                        ; implicit-def: $vgpr16
                                        ; implicit-def: $vgpr30
                                        ; implicit-def: $vgpr28
                                        ; implicit-def: $vgpr102
                                        ; implicit-def: $vgpr100
                                        ; implicit-def: $vgpr10
                                        ; implicit-def: $vgpr96
                                        ; implicit-def: $vgpr78
	s_and_saveexec_b64 s[8:9], vcc
	s_cbranch_execz .LBB0_5
; %bb.4:
	ds_read2_b64 v[4:7], v192 offset0:17 offset1:38
	ds_read2_b64 v[76:79], v192 offset0:59 offset1:80
	;; [unrolled: 1-line block ×6, first 2 shown]
	v_add_u32_e32 v8, 0x800, v192
	ds_read2_b64 v[102:105], v8 offset0:13 offset1:34
	ds_read2_b64 v[94:97], v8 offset0:55 offset1:76
	ds_read_b64 v[10:11], v192 offset:2824
.LBB0_5:
	s_or_b64 exec, exec, s[8:9]
	v_lshl_add_u64 v[8:9], v[80:81], 0, 17
	v_accvgpr_write_b32 a96, v8
	s_waitcnt lgkmcnt(0)
	v_pk_add_f32 v[8:9], v[0:1], v[2:3]
	s_mov_b32 s8, 0xbeb8f4ab
	v_pk_add_f32 v[8:9], v[8:9], v[60:61]
	v_pk_add_f32 v[84:85], v[18:19], v[2:3]
	;; [unrolled: 1-line block ×3, first 2 shown]
	v_pk_add_f32 v[20:21], v[2:3], v[18:19] neg_lo:[0,1] neg_hi:[0,1]
	v_pk_add_f32 v[86:87], v[10:11], v[6:7]
	v_pk_add_f32 v[2:3], v[6:7], v[10:11] neg_lo:[0,1] neg_hi:[0,1]
	s_mov_b32 s9, 0x3f6eb680
	v_pk_add_f32 v[8:9], v[8:9], v[56:57]
	v_pk_add_f32 v[234:235], v[42:43], v[56:57]
	v_pk_add_f32 v[176:177], v[56:57], v[42:43] neg_lo:[0,1] neg_hi:[0,1]
	v_mov_b32_e32 v57, v87
	v_mov_b32_e32 v87, v2
	s_mov_b32 s42, s9
	s_mov_b32 s43, s8
	;; [unrolled: 1-line block ×4, first 2 shown]
	v_mov_b32_e32 v56, v3
	v_pk_mul_f32 v[2:3], v[86:87], s[42:43]
	s_mov_b32 s11, 0x3f3d2fb0
	s_mov_b32 s17, 0x3ee437d1
	v_accvgpr_write_b32 a91, v11
	v_accvgpr_write_b32 a99, v3
	s_mov_b32 s50, s11
	s_mov_b32 s51, s10
	;; [unrolled: 1-line block ×3, first 2 shown]
	v_accvgpr_write_b32 a92, v94
	s_mov_b32 s52, s17
	s_mov_b32 s53, s16
	v_pk_add_f32 v[180:181], v[8:9], v[58:59]
	v_pk_add_f32 v[238:239], v[38:39], v[60:61]
	v_pk_add_f32 v[248:249], v[60:61], v[38:39] neg_lo:[0,1] neg_hi:[0,1]
	v_accvgpr_write_b32 a90, v10
	v_pk_fma_f32 v[34:35], v[56:57], s[8:9], v[2:3]
	v_accvgpr_write_b32 a98, v2
	v_pk_fma_f32 v[8:9], v[56:57], s[8:9], v[2:3] neg_lo:[0,0,1] neg_hi:[0,0,1]
	v_pk_add_f32 v[60:61], v[76:77], v[96:97] neg_lo:[0,1] neg_hi:[0,1]
	v_pk_add_f32 v[10:11], v[76:77], v[96:97]
	v_pk_mul_f32 v[2:3], v[86:87], s[50:51]
	s_mov_b32 s15, 0x3dbcf732
	v_pk_add_f32 v[92:93], v[94:95], v[78:79]
	v_accvgpr_write_b32 a93, v95
	v_accvgpr_write_b32 a94, v96
	;; [unrolled: 1-line block ×3, first 2 shown]
	v_pk_add_f32 v[96:97], v[78:79], v[94:95] neg_lo:[0,1] neg_hi:[0,1]
	v_pk_mul_f32 v[94:95], v[86:87], s[52:53]
	v_mov_b32_e32 v72, v10
	v_mov_b32_e32 v73, v60
	v_pk_fma_f32 v[88:89], v[56:57], s[10:11], v[2:3]
	v_accvgpr_write_b32 a103, v3
	v_pk_fma_f32 v[64:65], v[56:57], s[10:11], v[2:3] neg_lo:[0,0,1] neg_hi:[0,0,1]
	s_mov_b32 s46, s15
	s_mov_b32 s47, s14
	v_accvgpr_write_b32 a78, v98
	v_accvgpr_write_b32 a69, v17
	v_accvgpr_write_b32 a107, v95
	v_pk_add_f32 v[236:237], v[36:37], v[62:63]
	v_pk_add_f32 v[70:71], v[62:63], v[36:37] neg_lo:[0,1] neg_hi:[0,1]
	v_mov_b32_e32 v62, v61
	v_mov_b32_e32 v63, v11
	v_accvgpr_write_b32 a102, v2
	v_pk_mul_f32 v[2:3], v[72:73], s[46:47]
	v_pk_add_f32 v[82:83], v[102:103], v[100:101]
	v_accvgpr_write_b32 a79, v99
	v_accvgpr_write_b32 a80, v100
	;; [unrolled: 1-line block ×3, first 2 shown]
	v_pk_add_f32 v[144:145], v[100:101], v[102:103] neg_lo:[0,1] neg_hi:[0,1]
	s_mov_b32 s64, s11
	v_pk_add_f32 v[100:101], v[16:17], v[14:15]
	v_accvgpr_write_b32 a68, v16
	v_accvgpr_write_b32 a67, v15
	;; [unrolled: 1-line block ×3, first 2 shown]
	v_pk_add_f32 v[164:165], v[14:15], v[16:17] neg_lo:[0,1] neg_hi:[0,1]
	v_accvgpr_write_b32 a97, v89
	v_mov_b32_e32 v64, v88
	v_pk_fma_f32 v[14:15], v[56:57], s[16:17], v[94:95]
	v_accvgpr_write_b32 a106, v94
	v_pk_fma_f32 v[88:89], v[56:57], s[16:17], v[94:95] neg_lo:[0,0,1] neg_hi:[0,0,1]
	v_pk_mul_f32 v[94:95], v[60:61], s[10:11] op_sel:[1,0] op_sel_hi:[0,0]
	v_pk_fma_f32 v[108:109], v[62:63], s[14:15], v[2:3]
	v_pk_fma_f32 v[66:67], v[62:63], s[14:15], v[2:3] neg_lo:[0,0,1] neg_hi:[0,0,1]
	v_mov_b32_e32 v8, v34
	v_accvgpr_write_b32 a123, v15
	v_mov_b32_e32 v88, v14
	v_pk_fma_f32 v[14:15], v[10:11], s[64:65], v[94:95] op_sel_hi:[1,0,1]
	v_pk_fma_f32 v[16:17], v[10:11], s[64:65], v[94:95] op_sel_hi:[1,0,1] neg_lo:[0,0,1] neg_hi:[0,0,1]
	s_mov_b32 s18, 0xbf4c4adb
	v_pk_add_f32 v[8:9], v[8:9], v[4:5]
	v_pk_add_f32 v[64:65], v[64:65], v[4:5]
	v_mov_b32_e32 v10, v14
	v_mov_b32_e32 v11, v17
	;; [unrolled: 1-line block ×3, first 2 shown]
	s_mov_b32 s19, 0xbf1a4643
	v_pk_add_f32 v[8:9], v[10:11], v[8:9]
	v_pk_add_f32 v[10:11], v[66:67], v[64:65]
	s_mov_b32 s70, s17
	v_pk_mul_f32 v[66:67], v[96:97], s[16:17] op_sel_hi:[1,0]
	v_accvgpr_write_b32 a105, v3
	s_mov_b32 s44, s19
	s_mov_b32 s45, s18
	v_accvgpr_write_b32 a117, v15
	v_accvgpr_write_b32 a112, v16
	v_pk_fma_f32 v[14:15], v[92:93], s[70:71], v[66:67] op_sel:[0,0,1] op_sel_hi:[1,0,0]
	v_pk_fma_f32 v[16:17], v[92:93], s[70:71], v[66:67] op_sel:[0,0,1] op_sel_hi:[1,0,0] neg_lo:[0,0,1] neg_hi:[0,0,1]
	v_accvgpr_write_b32 a104, v2
	v_pk_mul_f32 v[2:3], v[72:73], s[44:45]
	v_mov_b32_e32 v66, v14
	v_mov_b32_e32 v67, v17
	v_accvgpr_write_b32 a111, v3
	s_mov_b32 s26, 0x3e3c28d5
	v_pk_add_f32 v[8:9], v[66:67], v[8:9]
	s_mov_b32 s66, s19
	v_pk_mul_f32 v[66:67], v[96:97], s[18:19] op_sel_hi:[1,0]
	v_pk_fma_f32 v[110:111], v[62:63], s[18:19], v[2:3]
	v_accvgpr_write_b32 a110, v2
	v_pk_fma_f32 v[68:69], v[62:63], s[18:19], v[2:3] neg_lo:[0,0,1] neg_hi:[0,0,1]
	s_mov_b32 s48, 0xbf7ba420
	v_pk_mul_f32 v[2:3], v[96:97], s[26:27] op_sel_hi:[1,0]
	v_accvgpr_write_b32 a119, v15
	v_accvgpr_write_b32 a114, v16
	v_pk_fma_f32 v[14:15], v[92:93], s[66:67], v[66:67] op_sel:[0,0,1] op_sel_hi:[1,0,0]
	v_pk_fma_f32 v[16:17], v[92:93], s[66:67], v[66:67] op_sel:[0,0,1] op_sel_hi:[1,0,0] neg_lo:[0,0,1] neg_hi:[0,0,1]
	v_pk_fma_f32 v[112:113], v[92:93], s[48:49], v[2:3] op_sel:[0,0,1] op_sel_hi:[1,0,0]
	v_pk_fma_f32 v[106:107], v[92:93], s[48:49], v[2:3] op_sel:[0,0,1] op_sel_hi:[1,0,0] neg_lo:[0,0,1] neg_hi:[0,0,1]
	v_pk_add_f32 v[88:89], v[88:89], v[4:5]
	v_mov_b32_e32 v68, v110
	v_mov_b32_e32 v66, v14
	v_mov_b32_e32 v67, v17
	v_accvgpr_write_b32 a89, v79
	v_pk_add_f32 v[148:149], v[98:99], v[104:105] neg_lo:[0,1] neg_hi:[0,1]
	v_pk_add_f32 v[64:65], v[68:69], v[88:89]
	v_pk_add_f32 v[10:11], v[66:67], v[10:11]
	v_mov_b32_e32 v66, v112
	v_mov_b32_e32 v67, v107
	v_accvgpr_write_b32 a88, v78
	v_accvgpr_write_b32 a87, v77
	;; [unrolled: 1-line block ×3, first 2 shown]
	v_pk_add_f32 v[78:79], v[104:105], v[98:99]
	s_mov_b32 s62, s15
	v_pk_add_f32 v[64:65], v[66:67], v[64:65]
	v_pk_mul_f32 v[66:67], v[148:149], s[14:15] op_sel:[1,0] op_sel_hi:[0,0]
	v_accvgpr_write_b32 a115, v15
	v_accvgpr_write_b32 a108, v16
	v_pk_fma_f32 v[14:15], v[78:79], s[62:63], v[66:67] op_sel_hi:[1,0,1]
	v_pk_fma_f32 v[16:17], v[78:79], s[62:63], v[66:67] op_sel_hi:[1,0,1] neg_lo:[0,0,1] neg_hi:[0,0,1]
	v_mov_b32_e32 v66, v14
	v_mov_b32_e32 v67, v17
	s_mov_b32 s20, 0xbe3c28d5
	v_pk_add_f32 v[8:9], v[66:67], v[8:9]
	v_pk_mul_f32 v[66:67], v[148:149], s[20:21] op_sel:[1,0] op_sel_hi:[0,0]
	v_accvgpr_write_b32 a121, v15
	v_accvgpr_write_b32 a116, v16
	v_pk_fma_f32 v[14:15], v[78:79], s[48:49], v[66:67] op_sel_hi:[1,0,1]
	v_pk_fma_f32 v[16:17], v[78:79], s[48:49], v[66:67] op_sel_hi:[1,0,1] neg_lo:[0,0,1] neg_hi:[0,0,1]
	v_mov_b32_e32 v66, v14
	v_mov_b32_e32 v67, v17
	s_mov_b32 s28, 0x3f763a35
	v_pk_add_f32 v[10:11], v[66:67], v[10:11]
	s_mov_b32 s54, 0xbe8c1d8e
	v_pk_mul_f32 v[66:67], v[148:149], s[28:29] op_sel:[1,0] op_sel_hi:[0,0]
	v_accvgpr_write_b32 a125, v15
	v_accvgpr_write_b32 a118, v16
	v_pk_fma_f32 v[14:15], v[78:79], s[54:55], v[66:67] op_sel_hi:[1,0,1]
	v_pk_fma_f32 v[16:17], v[78:79], s[54:55], v[66:67] op_sel_hi:[1,0,1] neg_lo:[0,0,1] neg_hi:[0,0,1]
	v_mov_b32_e32 v66, v14
	v_mov_b32_e32 v67, v17
	v_pk_add_f32 v[64:65], v[66:67], v[64:65]
	v_pk_mul_f32 v[66:67], v[86:87], s[44:45]
	s_mov_b32 s55, s28
	v_accvgpr_write_b32 a82, v102
	v_pk_fma_f32 v[68:69], v[56:57], s[18:19], v[66:67] neg_lo:[1,0,0] neg_hi:[1,0,0]
	v_pk_fma_f32 v[88:89], v[56:57], s[18:19], v[66:67]
	s_mov_b32 s29, s54
	v_pk_mul_f32 v[94:95], v[72:73], s[54:55]
	v_pk_fma_f32 v[66:67], v[56:57], s[18:19], v[66:67] neg_lo:[0,0,1] neg_hi:[0,0,1]
	v_accvgpr_write_b32 a83, v103
	v_accvgpr_write_b32 a84, v104
	;; [unrolled: 1-line block ×3, first 2 shown]
	v_mov_b32_e32 v69, v89
	v_pk_fma_f32 v[98:99], v[60:61], s[28:29], v[94:95] op_sel:[1,0,0] neg_lo:[1,0,0] neg_hi:[1,0,0]
	v_pk_fma_f32 v[102:103], v[62:63], s[28:29], v[94:95]
	s_mov_b32 s72, s9
	v_pk_mul_f32 v[104:105], v[96:97], s[8:9] op_sel_hi:[1,0]
	s_mov_b32 s22, 0xbf06c442
	v_mov_b32_e32 v89, v67
	v_pk_fma_f32 v[66:67], v[62:63], s[28:29], v[94:95] neg_lo:[0,0,1] neg_hi:[0,0,1]
	v_accvgpr_write_b32 a109, v111
	v_accvgpr_write_b32 a100, v106
	v_mov_b32_e32 v99, v103
	v_pk_fma_f32 v[106:107], v[92:93], s[72:73], v[104:105] op_sel:[0,0,1] op_sel_hi:[1,0,0] neg_lo:[0,0,1] neg_hi:[0,0,1]
	v_pk_fma_f32 v[104:105], v[92:93], s[72:73], v[104:105] op_sel:[0,0,1] op_sel_hi:[1,0,0]
	s_mov_b32 s58, 0xbf59a7d5
	v_pk_mul_f32 v[110:111], v[148:149], s[22:23] op_sel:[1,0] op_sel_hi:[0,0]
	v_mov_b32_e32 v103, v67
	v_pk_add_f32 v[66:67], v[88:89], v[4:5]
	v_accvgpr_write_b32 a101, v109
	v_accvgpr_write_b32 a113, v113
	v_mov_b32_e32 v109, v105
	v_pk_fma_f32 v[112:113], v[78:79], s[58:59], v[110:111] op_sel_hi:[1,0,1] neg_lo:[0,0,1] neg_hi:[0,0,1]
	v_pk_fma_f32 v[110:111], v[78:79], s[58:59], v[110:111] op_sel_hi:[1,0,1]
	v_mov_b32_e32 v105, v107
	v_pk_add_f32 v[66:67], v[102:103], v[66:67]
	v_mov_b32_e32 v115, v111
	v_mov_b32_e32 v111, v113
	v_pk_add_f32 v[66:67], v[104:105], v[66:67]
	s_mov_b32 s24, 0xbf763a35
	v_accvgpr_write_b32 a73, v29
	v_pk_add_f32 v[94:95], v[110:111], v[66:67]
	v_pk_mul_f32 v[66:67], v[144:145], s[24:25] op_sel:[1,0] op_sel_hi:[0,0]
	v_pk_add_f32 v[146:147], v[32:33], v[26:27]
	v_pk_add_f32 v[152:153], v[26:27], v[32:33] neg_lo:[0,1] neg_hi:[0,1]
	v_accvgpr_write_b32 a72, v28
	v_accvgpr_write_b32 a71, v27
	;; [unrolled: 1-line block ×4, first 2 shown]
	v_pk_fma_f32 v[16:17], v[82:83], s[54:55], v[66:67] op_sel_hi:[1,0,1]
	v_pk_fma_f32 v[26:27], v[82:83], s[54:55], v[66:67] op_sel_hi:[1,0,1] neg_lo:[0,0,1] neg_hi:[0,0,1]
	v_mov_b32_e32 v66, v16
	v_mov_b32_e32 v67, v27
	s_mov_b32 s30, 0x3f06c442
	v_pk_add_f32 v[8:9], v[66:67], v[8:9]
	v_pk_mul_f32 v[66:67], v[144:145], s[30:31] op_sel:[1,0] op_sel_hi:[0,0]
	v_accvgpr_write_b32 a133, v17
	v_accvgpr_write_b32 a126, v26
	v_pk_fma_f32 v[16:17], v[82:83], s[58:59], v[66:67] op_sel_hi:[1,0,1]
	v_pk_fma_f32 v[26:27], v[82:83], s[58:59], v[66:67] op_sel_hi:[1,0,1] neg_lo:[0,0,1] neg_hi:[0,0,1]
	v_mov_b32_e32 v66, v16
	v_mov_b32_e32 v67, v27
	s_mov_b32 s34, 0x3f2c7751
	v_pk_add_f32 v[10:11], v[66:67], v[10:11]
	v_pk_mul_f32 v[66:67], v[144:145], s[34:35] op_sel:[1,0] op_sel_hi:[0,0]
	v_pk_add_f32 v[68:69], v[68:69], v[4:5]
	v_accvgpr_write_b32 a131, v17
	v_accvgpr_write_b32 a124, v26
	v_pk_fma_f32 v[16:17], v[82:83], s[64:65], v[66:67] op_sel_hi:[1,0,1]
	v_pk_fma_f32 v[26:27], v[82:83], s[64:65], v[66:67] op_sel_hi:[1,0,1] neg_lo:[0,0,1] neg_hi:[0,0,1]
	v_mov_b32_e32 v108, v106
	v_pk_add_f32 v[68:69], v[98:99], v[68:69]
	v_mov_b32_e32 v66, v16
	v_mov_b32_e32 v67, v27
	;; [unrolled: 1-line block ×3, first 2 shown]
	v_pk_add_f32 v[68:69], v[108:109], v[68:69]
	v_pk_add_f32 v[98:99], v[66:67], v[64:65]
	v_pk_mul_f32 v[64:65], v[144:145], s[16:17] op_sel:[1,0] op_sel_hi:[0,0]
	s_mov_b32 s56, s54
	s_mov_b32 s57, s24
	v_accvgpr_write_b32 a127, v15
	v_pk_add_f32 v[14:15], v[114:115], v[68:69]
	v_pk_fma_f32 v[66:67], v[82:83], s[70:71], v[64:65] op_sel_hi:[1,0,1]
	v_pk_fma_f32 v[68:69], v[82:83], s[70:71], v[64:65] op_sel_hi:[1,0,1] neg_lo:[0,0,1] neg_hi:[0,0,1]
	s_mov_b32 s25, s54
	v_pk_mul_f32 v[64:65], v[86:87], s[56:57]
	s_mov_b32 s59, s30
	v_pk_fma_f32 v[102:103], v[56:57], s[24:25], v[64:65] neg_lo:[1,0,0] neg_hi:[1,0,0]
	v_pk_fma_f32 v[104:105], v[56:57], s[24:25], v[64:65]
	s_mov_b32 s31, s58
	v_pk_mul_f32 v[106:107], v[72:73], s[58:59]
	v_pk_fma_f32 v[64:65], v[56:57], s[24:25], v[64:65] neg_lo:[0,0,1] neg_hi:[0,0,1]
	v_mov_b32_e32 v103, v105
	v_pk_fma_f32 v[108:109], v[60:61], s[30:31], v[106:107] op_sel:[1,0,0] neg_lo:[1,0,0] neg_hi:[1,0,0]
	v_pk_fma_f32 v[110:111], v[62:63], s[30:31], v[106:107]
	v_pk_mul_f32 v[112:113], v[96:97], s[34:35] op_sel_hi:[1,0]
	v_mov_b32_e32 v105, v65
	v_pk_fma_f32 v[64:65], v[62:63], s[30:31], v[106:107] neg_lo:[0,0,1] neg_hi:[0,0,1]
	v_mov_b32_e32 v109, v111
	v_pk_fma_f32 v[114:115], v[92:93], s[64:65], v[112:113] op_sel:[0,0,1] op_sel_hi:[1,0,0] neg_lo:[0,0,1] neg_hi:[0,0,1]
	v_pk_fma_f32 v[112:113], v[92:93], s[64:65], v[112:113] op_sel:[0,0,1] op_sel_hi:[1,0,0]
	v_pk_mul_f32 v[118:119], v[148:149], s[16:17] op_sel:[1,0] op_sel_hi:[0,0]
	v_pk_add_f32 v[102:103], v[102:103], v[4:5]
	v_mov_b32_e32 v111, v65
	v_pk_add_f32 v[64:65], v[104:105], v[4:5]
	v_mov_b32_e32 v116, v114
	v_mov_b32_e32 v117, v113
	v_pk_fma_f32 v[120:121], v[78:79], s[70:71], v[118:119] op_sel_hi:[1,0,1] neg_lo:[0,0,1] neg_hi:[0,0,1]
	v_pk_fma_f32 v[118:119], v[78:79], s[70:71], v[118:119] op_sel_hi:[1,0,1]
	v_pk_mul_f32 v[124:125], v[144:145], s[20:21] op_sel:[1,0] op_sel_hi:[0,0]
	v_pk_add_f32 v[102:103], v[108:109], v[102:103]
	v_mov_b32_e32 v113, v115
	v_pk_add_f32 v[64:65], v[110:111], v[64:65]
	v_mov_b32_e32 v122, v120
	v_mov_b32_e32 v123, v119
	v_pk_fma_f32 v[126:127], v[82:83], s[48:49], v[124:125] op_sel_hi:[1,0,1] neg_lo:[0,0,1] neg_hi:[0,0,1]
	v_pk_fma_f32 v[124:125], v[82:83], s[48:49], v[124:125] op_sel_hi:[1,0,1]
	v_pk_add_f32 v[102:103], v[116:117], v[102:103]
	v_pk_add_f32 v[64:65], v[112:113], v[64:65]
	v_mov_b32_e32 v119, v121
	s_mov_b32 s38, 0x3f7ee86f
	v_mov_b32_e32 v128, v126
	v_mov_b32_e32 v129, v125
	v_pk_add_f32 v[102:103], v[122:123], v[102:103]
	v_pk_add_f32 v[64:65], v[118:119], v[64:65]
	v_mov_b32_e32 v125, v127
	v_pk_mul_f32 v[2:3], v[144:145], s[38:39] op_sel:[1,0] op_sel_hi:[0,0]
	v_pk_mul_f32 v[76:77], v[152:153], s[10:11] op_sel:[1,0] op_sel_hi:[0,0]
	v_accvgpr_write_b32 a129, v17
	v_pk_add_f32 v[16:17], v[128:129], v[102:103]
	v_pk_add_f32 v[102:103], v[124:125], v[64:65]
	v_pk_mul_f32 v[64:65], v[152:153], s[18:19] op_sel:[1,0] op_sel_hi:[0,0]
	v_pk_fma_f32 v[166:167], v[82:83], s[62:63], v[2:3] op_sel_hi:[1,0,1] neg_lo:[0,0,1] neg_hi:[0,0,1]
	v_pk_fma_f32 v[168:169], v[82:83], s[62:63], v[2:3] op_sel_hi:[1,0,1]
	v_pk_fma_f32 v[2:3], v[146:147], s[64:65], v[76:77] op_sel_hi:[1,0,1] neg_lo:[0,0,1] neg_hi:[0,0,1]
	v_pk_fma_f32 v[160:161], v[146:147], s[64:65], v[76:77] op_sel_hi:[1,0,1]
	v_pk_add_f32 v[76:77], v[30:31], v[28:29]
	v_pk_add_f32 v[150:151], v[28:29], v[30:31] neg_lo:[0,1] neg_hi:[0,1]
	v_accvgpr_write_b32 a122, v26
	v_pk_fma_f32 v[26:27], v[146:147], s[66:67], v[64:65] op_sel_hi:[1,0,1]
	v_pk_fma_f32 v[28:29], v[146:147], s[66:67], v[64:65] op_sel_hi:[1,0,1] neg_lo:[0,0,1] neg_hi:[0,0,1]
	v_mov_b32_e32 v64, v26
	v_mov_b32_e32 v65, v29
	v_pk_add_f32 v[64:65], v[64:65], v[8:9]
	v_pk_mul_f32 v[8:9], v[152:153], s[28:29] op_sel:[1,0] op_sel_hi:[0,0]
	v_pk_mul_f32 v[104:105], v[86:87], s[46:47]
	s_mov_b32 s49, s20
	v_accvgpr_write_b32 a139, v27
	v_accvgpr_write_b32 a132, v28
	v_pk_fma_f32 v[26:27], v[146:147], s[54:55], v[8:9] op_sel_hi:[1,0,1]
	v_pk_fma_f32 v[28:29], v[146:147], s[54:55], v[8:9] op_sel_hi:[1,0,1] neg_lo:[0,0,1] neg_hi:[0,0,1]
	v_pk_fma_f32 v[106:107], v[56:57], s[14:15], v[104:105] neg_lo:[1,0,0] neg_hi:[1,0,0]
	v_pk_fma_f32 v[108:109], v[56:57], s[14:15], v[104:105]
	s_mov_b32 s21, s48
	v_pk_mul_f32 v[110:111], v[72:73], s[48:49]
	v_pk_fma_f32 v[104:105], v[56:57], s[14:15], v[104:105] neg_lo:[0,0,1] neg_hi:[0,0,1]
	v_mov_b32_e32 v8, v26
	v_mov_b32_e32 v9, v29
	;; [unrolled: 1-line block ×3, first 2 shown]
	v_pk_fma_f32 v[112:113], v[60:61], s[20:21], v[110:111] op_sel:[1,0,0] neg_lo:[1,0,0] neg_hi:[1,0,0]
	v_pk_fma_f32 v[114:115], v[62:63], s[20:21], v[110:111]
	v_pk_mul_f32 v[116:117], v[96:97], s[28:29] op_sel_hi:[1,0]
	s_mov_b32 s36, 0x3eb8f4ab
	v_mov_b32_e32 v109, v105
	v_pk_fma_f32 v[104:105], v[62:63], s[20:21], v[110:111] neg_lo:[0,0,1] neg_hi:[0,0,1]
	v_pk_add_f32 v[8:9], v[8:9], v[10:11]
	v_pk_mul_f32 v[10:11], v[152:153], s[8:9] op_sel:[1,0] op_sel_hi:[0,0]
	v_mov_b32_e32 v113, v115
	v_pk_fma_f32 v[118:119], v[92:93], s[54:55], v[116:117] op_sel:[0,0,1] op_sel_hi:[1,0,0] neg_lo:[0,0,1] neg_hi:[0,0,1]
	v_pk_fma_f32 v[116:117], v[92:93], s[54:55], v[116:117] op_sel:[0,0,1] op_sel_hi:[1,0,0]
	v_pk_mul_f32 v[122:123], v[148:149], s[36:37] op_sel:[1,0] op_sel_hi:[0,0]
	v_pk_add_f32 v[106:107], v[106:107], v[4:5]
	v_mov_b32_e32 v115, v105
	v_pk_add_f32 v[104:105], v[108:109], v[4:5]
	v_accvgpr_write_b32 a137, v27
	v_accvgpr_write_b32 a130, v28
	v_pk_fma_f32 v[26:27], v[146:147], s[72:73], v[10:11] op_sel_hi:[1,0,1]
	v_pk_fma_f32 v[28:29], v[146:147], s[72:73], v[10:11] op_sel_hi:[1,0,1] neg_lo:[0,0,1] neg_hi:[0,0,1]
	v_mov_b32_e32 v120, v118
	v_mov_b32_e32 v121, v117
	v_pk_fma_f32 v[124:125], v[78:79], s[72:73], v[122:123] op_sel_hi:[1,0,1] neg_lo:[0,0,1] neg_hi:[0,0,1]
	v_pk_fma_f32 v[122:123], v[78:79], s[72:73], v[122:123] op_sel_hi:[1,0,1]
	v_pk_add_f32 v[106:107], v[112:113], v[106:107]
	v_pk_add_f32 v[104:105], v[114:115], v[104:105]
	v_mov_b32_e32 v117, v119
	v_mov_b32_e32 v10, v26
	;; [unrolled: 1-line block ×5, first 2 shown]
	v_pk_add_f32 v[106:107], v[120:121], v[106:107]
	v_pk_add_f32 v[104:105], v[116:117], v[104:105]
	v_mov_b32_e32 v123, v125
	v_mov_b32_e32 v88, v66
	;; [unrolled: 1-line block ×3, first 2 shown]
	v_pk_add_f32 v[10:11], v[10:11], v[98:99]
	v_pk_mul_f32 v[98:99], v[152:153], s[22:23] op_sel:[1,0] op_sel_hi:[0,0]
	v_pk_add_f32 v[106:107], v[126:127], v[106:107]
	v_pk_add_f32 v[104:105], v[122:123], v[104:105]
	v_mov_b32_e32 v69, v67
	v_pk_add_f32 v[66:67], v[68:69], v[106:107]
	v_pk_add_f32 v[68:69], v[88:89], v[104:105]
	v_pk_fma_f32 v[88:89], v[146:147], s[58:59], v[98:99] op_sel_hi:[1,0,1] neg_lo:[0,0,1] neg_hi:[0,0,1]
	v_pk_fma_f32 v[98:99], v[146:147], s[58:59], v[98:99] op_sel_hi:[1,0,1]
	v_mov_b32_e32 v104, v88
	v_mov_b32_e32 v105, v99
	;; [unrolled: 1-line block ×5, first 2 shown]
	v_pk_add_f32 v[166:167], v[104:105], v[66:67]
	v_pk_mul_f32 v[66:67], v[146:147], s[62:63] op_sel_hi:[1,0]
	v_pk_add_f32 v[94:95], v[168:169], v[94:95]
	v_pk_fma_f32 v[168:169], v[152:153], s[38:39], v[66:67] op_sel:[1,0,0] op_sel_hi:[0,0,1] neg_lo:[1,0,0] neg_hi:[1,0,0]
	v_pk_fma_f32 v[170:171], v[152:153], s[38:39], v[66:67] op_sel:[1,0,0] op_sel_hi:[0,0,1]
	v_mov_b32_e32 v99, v89
	v_mov_b32_e32 v66, v170
	;; [unrolled: 1-line block ×3, first 2 shown]
	v_pk_add_f32 v[68:69], v[98:99], v[68:69]
	v_pk_add_f32 v[98:99], v[66:67], v[102:103]
	v_pk_mul_f32 v[66:67], v[150:151], s[22:23] op_sel:[1,0] op_sel_hi:[0,0]
	v_accvgpr_write_b32 a135, v27
	v_accvgpr_write_b32 a128, v28
	v_pk_fma_f32 v[26:27], v[76:77], s[58:59], v[66:67] op_sel_hi:[1,0,1]
	v_pk_fma_f32 v[28:29], v[76:77], s[58:59], v[66:67] op_sel_hi:[1,0,1] neg_lo:[0,0,1] neg_hi:[0,0,1]
	v_mov_b32_e32 v66, v26
	v_mov_b32_e32 v67, v29
	s_mov_b32 s40, 0x3f65296c
	v_pk_add_f32 v[108:109], v[66:67], v[64:65]
	v_pk_mul_f32 v[64:65], v[150:151], s[40:41] op_sel:[1,0] op_sel_hi:[0,0]
	v_accvgpr_write_b32 a145, v27
	v_accvgpr_write_b32 a138, v28
	v_pk_fma_f32 v[26:27], v[76:77], s[70:71], v[64:65] op_sel_hi:[1,0,1]
	v_pk_fma_f32 v[28:29], v[76:77], s[70:71], v[64:65] op_sel_hi:[1,0,1] neg_lo:[0,0,1] neg_hi:[0,0,1]
	v_mov_b32_e32 v64, v26
	v_mov_b32_e32 v65, v29
	v_pk_add_f32 v[110:111], v[64:65], v[8:9]
	v_pk_mul_f32 v[8:9], v[150:151], s[14:15] op_sel:[1,0] op_sel_hi:[0,0]
	v_accvgpr_write_b32 a143, v27
	v_accvgpr_write_b32 a136, v28
	v_pk_fma_f32 v[26:27], v[76:77], s[62:63], v[8:9] op_sel_hi:[1,0,1]
	v_pk_fma_f32 v[28:29], v[76:77], s[62:63], v[8:9] op_sel_hi:[1,0,1] neg_lo:[0,0,1] neg_hi:[0,0,1]
	v_mov_b32_e32 v8, v26
	v_mov_b32_e32 v9, v29
	v_pk_add_f32 v[106:107], v[8:9], v[10:11]
	v_pk_mul_f32 v[8:9], v[76:77], s[66:67] op_sel_hi:[1,0]
	s_mov_b32 s60, 0x3f4c4adb
	v_pk_fma_f32 v[10:11], v[150:151], s[60:61], v[8:9] op_sel:[1,0,0] op_sel_hi:[0,0,1] neg_lo:[1,0,0] neg_hi:[1,0,0]
	v_pk_fma_f32 v[66:67], v[150:151], s[60:61], v[8:9] op_sel:[1,0,0] op_sel_hi:[0,0,1]
	v_mov_b32_e32 v8, v66
	v_mov_b32_e32 v9, v11
	v_pk_add_f32 v[102:103], v[8:9], v[68:69]
	v_pk_mul_f32 v[8:9], v[76:77], s[72:73] op_sel_hi:[1,0]
	v_mov_b32_e32 v157, v161
	v_pk_fma_f32 v[68:69], v[150:151], s[8:9], v[8:9] op_sel:[1,0,0] op_sel_hi:[0,0,1] neg_lo:[1,0,0] neg_hi:[1,0,0]
	v_pk_fma_f32 v[88:89], v[150:151], s[8:9], v[8:9] op_sel:[1,0,0] op_sel_hi:[0,0,1]
	v_mov_b32_e32 v8, v88
	v_mov_b32_e32 v9, v69
	;; [unrolled: 1-line block ×3, first 2 shown]
	v_pk_add_f32 v[104:105], v[8:9], v[98:99]
	v_pk_mul_f32 v[8:9], v[150:151], s[20:21] op_sel:[1,0] op_sel_hi:[0,0]
	v_mov_b32_e32 v156, v2
	v_pk_add_f32 v[2:3], v[160:161], v[94:95]
	v_pk_fma_f32 v[94:95], v[76:77], s[48:49], v[8:9] op_sel_hi:[1,0,1]
	v_pk_fma_f32 v[98:99], v[76:77], s[48:49], v[8:9] op_sel_hi:[1,0,1] neg_lo:[0,0,1] neg_hi:[0,0,1]
	v_mov_b32_e32 v8, v94
	v_mov_b32_e32 v9, v99
	v_pk_add_f32 v[64:65], v[8:9], v[2:3]
	v_pk_mul_f32 v[2:3], v[86:87], s[48:49]
	s_mov_b32 s68, s9
	s_mov_b32 s69, s36
	v_pk_fma_f32 v[8:9], v[56:57], s[20:21], v[2:3] neg_lo:[1,0,0] neg_hi:[1,0,0]
	v_pk_fma_f32 v[112:113], v[56:57], s[20:21], v[2:3]
	s_mov_b32 s37, s9
	v_pk_mul_f32 v[114:115], v[72:73], s[68:69]
	v_pk_fma_f32 v[2:3], v[56:57], s[20:21], v[2:3] neg_lo:[0,0,1] neg_hi:[0,0,1]
	v_mov_b32_e32 v9, v113
	v_pk_fma_f32 v[116:117], v[60:61], s[36:37], v[114:115] op_sel:[1,0,0] neg_lo:[1,0,0] neg_hi:[1,0,0]
	v_pk_fma_f32 v[118:119], v[62:63], s[36:37], v[114:115]
	v_pk_mul_f32 v[120:121], v[96:97], s[22:23] op_sel_hi:[1,0]
	v_mov_b32_e32 v113, v3
	v_pk_fma_f32 v[2:3], v[62:63], s[36:37], v[114:115] neg_lo:[0,0,1] neg_hi:[0,0,1]
	v_mov_b32_e32 v117, v119
	v_pk_fma_f32 v[122:123], v[92:93], s[58:59], v[120:121] op_sel:[0,0,1] op_sel_hi:[1,0,0] neg_lo:[0,0,1] neg_hi:[0,0,1]
	v_pk_fma_f32 v[120:121], v[92:93], s[58:59], v[120:121] op_sel:[0,0,1] op_sel_hi:[1,0,0]
	v_pk_mul_f32 v[126:127], v[148:149], s[34:35] op_sel:[1,0] op_sel_hi:[0,0]
	v_pk_add_f32 v[8:9], v[8:9], v[4:5]
	v_mov_b32_e32 v119, v3
	v_pk_add_f32 v[2:3], v[112:113], v[4:5]
	v_mov_b32_e32 v124, v122
	v_mov_b32_e32 v125, v121
	v_pk_fma_f32 v[128:129], v[78:79], s[64:65], v[126:127] op_sel_hi:[1,0,1] neg_lo:[0,0,1] neg_hi:[0,0,1]
	v_pk_fma_f32 v[126:127], v[78:79], s[64:65], v[126:127] op_sel_hi:[1,0,1]
	v_pk_mul_f32 v[132:133], v[144:145], s[18:19] op_sel:[1,0] op_sel_hi:[0,0]
	v_pk_add_f32 v[8:9], v[116:117], v[8:9]
	v_mov_b32_e32 v121, v123
	v_pk_add_f32 v[2:3], v[118:119], v[2:3]
	v_mov_b32_e32 v130, v128
	v_mov_b32_e32 v131, v127
	v_pk_fma_f32 v[134:135], v[82:83], s[66:67], v[132:133] op_sel_hi:[1,0,1] neg_lo:[0,0,1] neg_hi:[0,0,1]
	v_pk_fma_f32 v[132:133], v[82:83], s[66:67], v[132:133] op_sel_hi:[1,0,1]
	;; [unrolled: 8-line block ×4, first 2 shown]
	v_pk_add_f32 v[8:9], v[136:137], v[8:9]
	v_mov_b32_e32 v139, v141
	v_pk_add_f32 v[2:3], v[132:133], v[2:3]
	v_mov_b32_e32 v178, v174
	v_mov_b32_e32 v179, v173
	v_pk_add_f32 v[8:9], v[160:161], v[8:9]
	v_pk_add_f32 v[112:113], v[138:139], v[2:3]
	v_mov_b32_e32 v173, v175
	v_pk_add_f32 v[2:3], v[178:179], v[8:9]
	v_pk_add_f32 v[8:9], v[172:173], v[112:113]
	v_pk_mul_f32 v[112:113], v[164:165], s[20:21] op_sel:[1,0] op_sel_hi:[0,0]
	v_accvgpr_write_b32 a141, v27
	v_accvgpr_write_b32 a134, v28
	v_pk_fma_f32 v[26:27], v[100:101], s[48:49], v[112:113] op_sel_hi:[1,0,1]
	v_pk_fma_f32 v[28:29], v[100:101], s[48:49], v[112:113] op_sel_hi:[1,0,1] neg_lo:[0,0,1] neg_hi:[0,0,1]
	v_mov_b32_e32 v112, v26
	v_mov_b32_e32 v113, v29
	v_accvgpr_write_b32 a149, v27
	v_pk_add_f32 v[26:27], v[112:113], v[108:109]
	v_pk_mul_f32 v[108:109], v[164:165], s[36:37] op_sel:[1,0] op_sel_hi:[0,0]
	v_accvgpr_write_b32 a41, v27
	v_accvgpr_write_b32 a142, v28
	;; [unrolled: 1-line block ×3, first 2 shown]
	v_pk_fma_f32 v[26:27], v[100:101], s[72:73], v[108:109] op_sel_hi:[1,0,1]
	v_pk_fma_f32 v[28:29], v[100:101], s[72:73], v[108:109] op_sel_hi:[1,0,1] neg_lo:[0,0,1] neg_hi:[0,0,1]
	v_mov_b32_e32 v108, v26
	v_mov_b32_e32 v109, v29
	v_accvgpr_write_b32 a147, v27
	v_pk_add_f32 v[26:27], v[108:109], v[110:111]
	v_pk_mul_f32 v[108:109], v[164:165], s[22:23] op_sel:[1,0] op_sel_hi:[0,0]
	v_accvgpr_write_b32 a43, v27
	v_accvgpr_write_b32 a140, v28
	;; [unrolled: 1-line block ×3, first 2 shown]
	v_pk_fma_f32 v[26:27], v[100:101], s[58:59], v[108:109] op_sel_hi:[1,0,1]
	v_pk_fma_f32 v[28:29], v[100:101], s[58:59], v[108:109] op_sel_hi:[1,0,1] neg_lo:[0,0,1] neg_hi:[0,0,1]
	v_mov_b32_e32 v108, v26
	v_mov_b32_e32 v109, v29
	v_accvgpr_write_b32 a151, v27
	v_pk_add_f32 v[26:27], v[108:109], v[106:107]
	v_pk_mul_f32 v[106:107], v[100:101], s[64:65] op_sel_hi:[1,0]
	v_accvgpr_write_b32 a45, v27
	v_pk_fma_f32 v[108:109], v[164:165], s[34:35], v[106:107] op_sel:[1,0,0] op_sel_hi:[0,0,1] neg_lo:[1,0,0] neg_hi:[1,0,0]
	v_pk_fma_f32 v[106:107], v[164:165], s[34:35], v[106:107] op_sel:[1,0,0] op_sel_hi:[0,0,1]
	v_mov_b32_e32 v110, v106
	v_mov_b32_e32 v111, v109
	;; [unrolled: 1-line block ×3, first 2 shown]
	v_accvgpr_write_b32 a44, v26
	v_pk_add_f32 v[26:27], v[110:111], v[102:103]
	v_pk_mul_f32 v[102:103], v[164:165], s[18:19] op_sel:[1,0] op_sel_hi:[0,0]
	v_mov_b32_e32 v169, v171
	v_pk_add_f32 v[10:11], v[10:11], v[166:167]
	v_mov_b32_e32 v109, v107
	v_pk_fma_f32 v[110:111], v[100:101], s[66:67], v[102:103] op_sel_hi:[1,0,1]
	v_pk_fma_f32 v[102:103], v[100:101], s[66:67], v[102:103] op_sel_hi:[1,0,1] neg_lo:[0,0,1] neg_hi:[0,0,1]
	v_pk_add_f32 v[114:115], v[168:169], v[16:17]
	v_mov_b32_e32 v69, v89
	v_pk_add_f32 v[10:11], v[108:109], v[10:11]
	v_mov_b32_e32 v113, v103
	v_pk_add_f32 v[66:67], v[68:69], v[114:115]
	v_accvgpr_write_b32 a55, v11
	v_mov_b32_e32 v103, v111
	v_accvgpr_write_b32 a47, v27
	v_mov_b32_e32 v112, v110
	v_accvgpr_write_b32 a54, v10
	v_pk_add_f32 v[10:11], v[102:103], v[66:67]
	v_accvgpr_write_b32 a46, v26
	v_pk_add_f32 v[26:27], v[112:113], v[104:105]
	v_pk_mul_f32 v[104:105], v[164:165], s[40:41] op_sel:[1,0] op_sel_hi:[0,0]
	v_accvgpr_write_b32 a53, v11
	v_pk_add_f32 v[112:113], v[24:25], v[14:15]
	v_accvgpr_write_b32 a52, v10
	v_pk_fma_f32 v[10:11], v[100:101], s[70:71], v[104:105] op_sel_hi:[1,0,1] neg_lo:[0,0,1] neg_hi:[0,0,1]
	v_pk_fma_f32 v[66:67], v[100:101], s[70:71], v[104:105] op_sel_hi:[1,0,1]
	v_pk_add_f32 v[112:113], v[156:157], v[112:113]
	v_mov_b32_e32 v99, v95
	v_mov_b32_e32 v89, v67
	;; [unrolled: 1-line block ×3, first 2 shown]
	s_mov_b32 s74, s58
	s_mov_b32 s75, s22
	v_pk_add_f32 v[68:69], v[98:99], v[112:113]
	v_mov_b32_e32 v88, v10
	v_pk_add_f32 v[10:11], v[66:67], v[64:65]
	s_mov_b32 s23, s58
	v_pk_mul_f32 v[64:65], v[86:87], s[74:75]
	s_mov_b32 s71, s40
	v_pk_add_f32 v[14:15], v[88:89], v[68:69]
	v_pk_fma_f32 v[66:67], v[56:57], s[22:23], v[64:65] neg_lo:[1,0,0] neg_hi:[1,0,0]
	v_pk_fma_f32 v[68:69], v[56:57], s[22:23], v[64:65]
	s_mov_b32 s41, s17
	v_pk_mul_f32 v[72:73], v[72:73], s[70:71]
	v_pk_fma_f32 v[64:65], v[56:57], s[22:23], v[64:65] neg_lo:[0,0,1] neg_hi:[0,0,1]
	v_mov_b32_e32 v67, v69
	v_pk_fma_f32 v[60:61], v[60:61], s[40:41], v[72:73] op_sel:[1,0,0] neg_lo:[1,0,0] neg_hi:[1,0,0]
	v_pk_fma_f32 v[86:87], v[62:63], s[40:41], v[72:73]
	v_pk_mul_f32 v[88:89], v[96:97], s[14:15] op_sel_hi:[1,0]
	v_mov_b32_e32 v69, v65
	v_pk_fma_f32 v[64:65], v[62:63], s[40:41], v[72:73] neg_lo:[0,0,1] neg_hi:[0,0,1]
	v_mov_b32_e32 v61, v87
	v_pk_fma_f32 v[94:95], v[92:93], s[62:63], v[88:89] op_sel:[0,0,1] op_sel_hi:[1,0,0] neg_lo:[0,0,1] neg_hi:[0,0,1]
	v_pk_fma_f32 v[88:89], v[92:93], s[62:63], v[88:89] op_sel:[0,0,1] op_sel_hi:[1,0,0]
	v_pk_mul_f32 v[96:97], v[148:149], s[60:61] op_sel:[1,0] op_sel_hi:[0,0]
	v_mov_b32_e32 v87, v65
	v_pk_add_f32 v[64:65], v[68:69], v[4:5]
	v_mov_b32_e32 v93, v89
	v_pk_fma_f32 v[98:99], v[78:79], s[66:67], v[96:97] op_sel_hi:[1,0,1] neg_lo:[0,0,1] neg_hi:[0,0,1]
	v_pk_fma_f32 v[78:79], v[78:79], s[66:67], v[96:97] op_sel_hi:[1,0,1]
	v_pk_mul_f32 v[102:103], v[144:145], s[8:9] op_sel:[1,0] op_sel_hi:[0,0]
	v_mov_b32_e32 v89, v95
	v_pk_add_f32 v[64:65], v[86:87], v[64:65]
	v_mov_b32_e32 v97, v79
	v_pk_fma_f32 v[104:105], v[82:83], s[72:73], v[102:103] op_sel_hi:[1,0,1] neg_lo:[0,0,1] neg_hi:[0,0,1]
	v_pk_fma_f32 v[82:83], v[82:83], s[72:73], v[102:103] op_sel_hi:[1,0,1]
	v_pk_mul_f32 v[106:107], v[152:153], s[20:21] op_sel:[1,0] op_sel_hi:[0,0]
	v_mov_b32_e32 v79, v99
	v_pk_add_f32 v[64:65], v[88:89], v[64:65]
	v_accvgpr_write_b32 a51, v11
	v_mov_b32_e32 v103, v83
	v_pk_fma_f32 v[108:109], v[146:147], s[48:49], v[106:107] op_sel_hi:[1,0,1] neg_lo:[0,0,1] neg_hi:[0,0,1]
	v_pk_fma_f32 v[106:107], v[146:147], s[48:49], v[106:107] op_sel_hi:[1,0,1]
	v_pk_mul_f32 v[112:113], v[150:151], s[34:35] op_sel:[1,0] op_sel_hi:[0,0]
	v_pk_add_f32 v[66:67], v[66:67], v[4:5]
	v_mov_b32_e32 v83, v105
	v_pk_add_f32 v[64:65], v[78:79], v[64:65]
	v_accvgpr_write_b32 a50, v10
	v_pk_mul_f32 v[10:11], v[164:165], s[24:25] op_sel:[1,0] op_sel_hi:[0,0]
	v_mov_b32_e32 v92, v94
	v_mov_b32_e32 v111, v107
	v_pk_fma_f32 v[114:115], v[76:77], s[64:65], v[112:113] op_sel_hi:[1,0,1] neg_lo:[0,0,1] neg_hi:[0,0,1]
	v_pk_fma_f32 v[76:77], v[76:77], s[64:65], v[112:113] op_sel_hi:[1,0,1]
	v_pk_add_f32 v[60:61], v[60:61], v[66:67]
	v_pk_add_f32 v[64:65], v[82:83], v[64:65]
	v_mov_b32_e32 v107, v109
	v_mov_b32_e32 v96, v98
	;; [unrolled: 1-line block ×3, first 2 shown]
	v_pk_add_f32 v[60:61], v[92:93], v[60:61]
	v_pk_add_f32 v[64:65], v[106:107], v[64:65]
	v_mov_b32_e32 v77, v115
	v_pk_fma_f32 v[66:67], v[100:101], s[54:55], v[10:11] op_sel_hi:[1,0,1] neg_lo:[0,0,1] neg_hi:[0,0,1]
	v_pk_fma_f32 v[10:11], v[100:101], s[54:55], v[10:11] op_sel_hi:[1,0,1]
	v_mov_b32_e32 v102, v104
	v_pk_add_f32 v[60:61], v[96:97], v[60:61]
	v_pk_add_f32 v[64:65], v[76:77], v[64:65]
	v_mov_b32_e32 v69, v11
	v_mov_b32_e32 v11, v67
	;; [unrolled: 1-line block ×3, first 2 shown]
	v_pk_add_f32 v[60:61], v[102:103], v[60:61]
	v_pk_add_f32 v[10:11], v[10:11], v[64:65]
	v_mov_b32_e32 v112, v114
	v_pk_add_f32 v[60:61], v[110:111], v[60:61]
	v_accvgpr_write_b32 a59, v11
	v_accvgpr_write_b32 a57, v15
	v_pk_add_f32 v[60:61], v[112:113], v[60:61]
	v_mov_b32_e32 v68, v66
	v_accvgpr_write_b32 a58, v10
	v_pk_mul_f32 v[10:11], v[100:101], s[62:63] op_sel_hi:[1,0]
	v_accvgpr_write_b32 a56, v14
	v_pk_add_f32 v[14:15], v[68:69], v[60:61]
	v_pk_fma_f32 v[60:61], v[164:165], s[38:39], v[10:11] op_sel:[1,0,0] op_sel_hi:[0,0,1] neg_lo:[1,0,0] neg_hi:[1,0,0]
	v_pk_fma_f32 v[10:11], v[164:165], s[38:39], v[10:11] op_sel:[1,0,0] op_sel_hi:[0,0,1]
	v_mov_b32_e32 v64, v60
	v_mov_b32_e32 v65, v11
	v_pk_add_f32 v[2:3], v[64:65], v[2:3]
	v_mov_b32_e32 v11, v61
	v_accvgpr_write_b32 a63, v3
	v_accvgpr_write_b32 a62, v2
	v_pk_add_f32 v[2:3], v[10:11], v[8:9]
	v_mov_b32_e32 v241, v85
	v_accvgpr_write_b32 a65, v3
	v_accvgpr_write_b32 a64, v2
	v_mul_lo_u16_e32 v2, 17, v80
	v_lshl_add_u32 v155, v2, 3, v90
	v_pk_add_f32 v[2:3], v[180:181], v[52:53]
	v_mov_b32_e32 v85, v20
	v_pk_add_f32 v[2:3], v[2:3], v[54:55]
	v_accvgpr_write_b32 a61, v15
	v_pk_add_f32 v[2:3], v[2:3], v[48:49]
	v_mov_b32_e32 v240, v21
	v_pk_add_f32 v[2:3], v[2:3], v[50:51]
	v_pk_mul_f32 v[10:11], v[84:85], s[42:43]
	v_pk_add_f32 v[2:3], v[2:3], v[44:45]
	v_accvgpr_write_b32 a60, v14
	v_pk_add_f32 v[2:3], v[2:3], v[46:47]
	v_pk_fma_f32 v[8:9], v[240:241], s[8:9], v[10:11] neg_lo:[1,0,0] neg_hi:[1,0,0]
	v_pk_add_f32 v[2:3], v[2:3], v[40:41]
	v_pk_fma_f32 v[86:87], v[240:241], s[8:9], v[10:11]
	v_pk_add_f32 v[2:3], v[2:3], v[42:43]
	v_accvgpr_write_b32 a167, v11
	v_pk_add_f32 v[2:3], v[2:3], v[36:37]
	v_mov_b32_e32 v37, v239
	v_mov_b32_e32 v239, v248
	;; [unrolled: 1-line block ×3, first 2 shown]
	v_pk_mul_f32 v[14:15], v[238:239], s[50:51]
	v_pk_add_f32 v[230:231], v[46:47], v[52:53]
	v_pk_add_f32 v[12:13], v[52:53], v[46:47] neg_lo:[0,1] neg_hi:[0,1]
	v_accvgpr_write_b32 a166, v10
	v_mov_b32_e32 v9, v87
	v_pk_fma_f32 v[10:11], v[36:37], s[10:11], v[14:15] neg_lo:[1,0,0] neg_hi:[1,0,0]
	v_pk_fma_f32 v[52:53], v[36:37], s[10:11], v[14:15]
	v_accvgpr_write_b32 a153, v15
	v_mov_b32_e32 v43, v237
	v_mov_b32_e32 v237, v70
	v_pk_add_f32 v[8:9], v[0:1], v[8:9]
	v_accvgpr_write_b32 a152, v14
	v_mov_b32_e32 v11, v53
	v_mov_b32_e32 v42, v71
	v_pk_mul_f32 v[14:15], v[236:237], s[52:53]
	v_pk_add_f32 v[74:75], v[50:51], v[48:49]
	v_pk_add_f32 v[22:23], v[48:49], v[50:51] neg_lo:[0,1] neg_hi:[0,1]
	v_pk_add_f32 v[8:9], v[10:11], v[8:9]
	v_pk_fma_f32 v[10:11], v[42:43], s[16:17], v[14:15] neg_lo:[1,0,0] neg_hi:[1,0,0]
	v_pk_fma_f32 v[46:47], v[42:43], s[16:17], v[14:15]
	v_accvgpr_write_b32 a155, v15
	v_mov_b32_e32 v49, v235
	v_mov_b32_e32 v235, v176
	v_pk_add_f32 v[232:233], v[40:41], v[58:59]
	v_pk_add_f32 v[226:227], v[58:59], v[40:41] neg_lo:[0,1] neg_hi:[0,1]
	v_accvgpr_write_b32 a154, v14
	v_mov_b32_e32 v11, v47
	v_mov_b32_e32 v48, v177
	v_pk_mul_f32 v[14:15], v[234:235], s[46:47]
	v_pk_add_f32 v[228:229], v[44:45], v[54:55]
	v_pk_add_f32 v[58:59], v[54:55], v[44:45] neg_lo:[0,1] neg_hi:[0,1]
	v_pk_add_f32 v[8:9], v[10:11], v[8:9]
	v_pk_fma_f32 v[10:11], v[48:49], s[14:15], v[14:15] neg_lo:[1,0,0] neg_hi:[1,0,0]
	v_pk_fma_f32 v[50:51], v[48:49], s[14:15], v[14:15]
	v_accvgpr_write_b32 a157, v15
	v_mov_b32_e32 v55, v233
	v_mov_b32_e32 v233, v226
	v_accvgpr_write_b32 a156, v14
	v_mov_b32_e32 v11, v51
	v_mov_b32_e32 v54, v227
	v_pk_mul_f32 v[14:15], v[232:233], s[56:57]
	v_pk_add_f32 v[8:9], v[10:11], v[8:9]
	v_pk_fma_f32 v[10:11], v[54:55], s[24:25], v[14:15] neg_lo:[1,0,0] neg_hi:[1,0,0]
	v_pk_fma_f32 v[44:45], v[54:55], s[24:25], v[14:15]
	v_mov_b32_e32 v249, v231
	v_mov_b32_e32 v231, v12
	;; [unrolled: 1-line block ×4, first 2 shown]
	v_pk_mul_f32 v[12:13], v[230:231], s[44:45]
	v_pk_add_f32 v[8:9], v[10:11], v[8:9]
	v_pk_fma_f32 v[10:11], v[248:249], s[18:19], v[12:13] neg_lo:[1,0,0] neg_hi:[1,0,0]
	v_pk_fma_f32 v[40:41], v[248:249], s[18:19], v[12:13]
	v_accvgpr_write_b32 a161, v13
	v_mov_b32_e32 v255, v229
	v_mov_b32_e32 v229, v58
	v_accvgpr_write_b32 a160, v12
	v_mov_b32_e32 v11, v41
	v_mov_b32_e32 v254, v59
	v_pk_mul_f32 v[12:13], v[228:229], s[74:75]
	v_pk_add_f32 v[8:9], v[10:11], v[8:9]
	v_pk_fma_f32 v[10:11], v[254:255], s[22:23], v[12:13] neg_lo:[1,0,0] neg_hi:[1,0,0]
	v_pk_fma_f32 v[58:59], v[254:255], s[22:23], v[12:13]
	v_accvgpr_write_b32 a163, v13
	v_mov_b32_e32 v227, v75
	v_mov_b32_e32 v75, v22
	v_accvgpr_write_b32 a162, v12
	v_mov_b32_e32 v11, v59
	v_mov_b32_e32 v226, v23
	v_pk_mul_f32 v[12:13], v[74:75], s[48:49]
	v_pk_add_f32 v[2:3], v[2:3], v[38:39]
	v_pk_add_f32 v[8:9], v[10:11], v[8:9]
	v_pk_fma_f32 v[10:11], v[226:227], s[20:21], v[12:13] neg_lo:[1,0,0] neg_hi:[1,0,0]
	v_pk_fma_f32 v[38:39], v[226:227], s[20:21], v[12:13]
	v_pk_add_f32 v[2:3], v[2:3], v[18:19]
	v_mov_b32_e32 v11, v39
	v_pk_add_f32 v[8:9], v[10:11], v[8:9]
	s_barrier
	ds_write2_b64 v155, v[2:3], v[8:9] offset1:1
	v_pk_mul_f32 v[8:9], v[84:85], s[50:51]
	v_pk_mul_f32 v[10:11], v[238:239], s[46:47]
	v_pk_fma_f32 v[2:3], v[240:241], s[10:11], v[8:9] neg_lo:[1,0,0] neg_hi:[1,0,0]
	v_pk_fma_f32 v[174:175], v[240:241], s[10:11], v[8:9]
	v_accvgpr_write_b32 a175, v9
	v_accvgpr_write_b32 a174, v8
	v_mov_b32_e32 v3, v175
	v_pk_fma_f32 v[8:9], v[36:37], s[14:15], v[10:11] neg_lo:[1,0,0] neg_hi:[1,0,0]
	v_pk_fma_f32 v[100:101], v[36:37], s[14:15], v[10:11]
	v_accvgpr_write_b32 a171, v11
	v_pk_add_f32 v[2:3], v[0:1], v[2:3]
	v_accvgpr_write_b32 a170, v10
	v_mov_b32_e32 v9, v101
	v_pk_mul_f32 v[10:11], v[236:237], s[44:45]
	v_pk_add_f32 v[2:3], v[8:9], v[2:3]
	v_pk_fma_f32 v[8:9], v[42:43], s[18:19], v[10:11] neg_lo:[1,0,0] neg_hi:[1,0,0]
	v_pk_fma_f32 v[170:171], v[42:43], s[18:19], v[10:11]
	v_accvgpr_write_b32 a173, v11
	v_accvgpr_write_b32 a172, v10
	v_mov_b32_e32 v9, v171
	v_pk_mul_f32 v[10:11], v[234:235], s[48:49]
	v_pk_add_f32 v[2:3], v[8:9], v[2:3]
	v_pk_fma_f32 v[8:9], v[48:49], s[20:21], v[10:11] neg_lo:[1,0,0] neg_hi:[1,0,0]
	v_pk_fma_f32 v[96:97], v[48:49], s[20:21], v[10:11]
	v_accvgpr_write_b32 a169, v11
	;; [unrolled: 7-line block ×6, first 2 shown]
	v_mov_b32_e32 v9, v61
	v_pk_mul_f32 v[178:179], v[84:85], s[52:53]
	v_accvgpr_write_b32 a164, v12
	v_accvgpr_write_b32 a183, v11
	v_pk_add_f32 v[2:3], v[8:9], v[2:3]
	v_pk_fma_f32 v[8:9], v[240:241], s[16:17], v[178:179] neg_lo:[1,0,0] neg_hi:[1,0,0]
	v_pk_fma_f32 v[78:79], v[240:241], s[16:17], v[178:179]
	v_pk_mul_f32 v[12:13], v[238:239], s[44:45]
	v_accvgpr_write_b32 a182, v10
	v_mov_b32_e32 v9, v79
	v_pk_fma_f32 v[10:11], v[36:37], s[18:19], v[12:13] neg_lo:[1,0,0] neg_hi:[1,0,0]
	v_pk_fma_f32 v[76:77], v[36:37], s[18:19], v[12:13]
	s_mov_b32 s62, s48
	s_mov_b32 s63, s26
	v_pk_add_f32 v[8:9], v[0:1], v[8:9]
	v_mov_b32_e32 v11, v77
	s_mov_b32 s27, s48
	v_pk_mul_f32 v[168:169], v[236:237], s[62:63]
	v_pk_add_f32 v[8:9], v[10:11], v[8:9]
	v_pk_fma_f32 v[10:11], v[42:43], s[26:27], v[168:169] neg_lo:[1,0,0] neg_hi:[1,0,0]
	v_pk_fma_f32 v[218:219], v[42:43], s[26:27], v[168:169]
	v_pk_mul_f32 v[146:147], v[234:235], s[54:55]
	v_mov_b32_e32 v11, v219
	v_pk_add_f32 v[8:9], v[10:11], v[8:9]
	v_pk_fma_f32 v[10:11], v[48:49], s[28:29], v[146:147] neg_lo:[1,0,0] neg_hi:[1,0,0]
	v_pk_fma_f32 v[144:145], v[48:49], s[28:29], v[146:147]
	s_mov_b32 s62, s11
	s_mov_b32 s63, s34
	v_mov_b32_e32 v11, v145
	s_mov_b32 s35, s11
	v_pk_mul_f32 v[150:151], v[232:233], s[62:63]
	v_pk_add_f32 v[8:9], v[10:11], v[8:9]
	v_pk_fma_f32 v[10:11], v[54:55], s[34:35], v[150:151] neg_lo:[1,0,0] neg_hi:[1,0,0]
	v_pk_fma_f32 v[148:149], v[54:55], s[34:35], v[150:151]
	v_pk_mul_f32 v[92:93], v[230:231], s[42:43]
	v_mov_b32_e32 v11, v149
	v_pk_add_f32 v[8:9], v[10:11], v[8:9]
	v_pk_fma_f32 v[10:11], v[248:249], s[8:9], v[92:93] neg_lo:[1,0,0] neg_hi:[1,0,0]
	v_pk_fma_f32 v[152:153], v[248:249], s[8:9], v[92:93]
	v_pk_mul_f32 v[82:83], v[228:229], s[46:47]
	v_mov_b32_e32 v11, v153
	;; [unrolled: 5-line block ×4, first 2 shown]
	v_pk_add_f32 v[8:9], v[10:11], v[8:9]
	v_pk_mul_f32 v[10:11], v[84:85], s[46:47]
	ds_write2_b64 v155, v[2:3], v[8:9] offset0:2 offset1:3
	v_pk_fma_f32 v[2:3], v[240:241], s[14:15], v[10:11] neg_lo:[1,0,0] neg_hi:[1,0,0]
	v_pk_fma_f32 v[8:9], v[240:241], s[14:15], v[10:11]
	v_pk_fma_f32 v[64:65], v[36:37], s[20:21], v[66:67] neg_lo:[1,0,0] neg_hi:[1,0,0]
	v_mov_b32_e32 v3, v9
	v_pk_fma_f32 v[164:165], v[36:37], s[20:21], v[66:67]
	v_pk_add_f32 v[2:3], v[0:1], v[2:3]
	v_mov_b32_e32 v65, v165
	v_pk_add_f32 v[2:3], v[64:65], v[2:3]
	v_pk_mul_f32 v[64:65], v[236:237], s[54:55]
	s_mov_b32 s64, s19
	v_pk_fma_f32 v[68:69], v[42:43], s[28:29], v[64:65] neg_lo:[1,0,0] neg_hi:[1,0,0]
	v_pk_fma_f32 v[166:167], v[42:43], s[28:29], v[64:65]
	s_mov_b32 s65, s60
	v_mov_b32_e32 v69, v167
	v_pk_add_f32 v[88:89], v[68:69], v[2:3]
	v_pk_mul_f32 v[68:69], v[234:235], s[68:69]
	s_mov_b32 s61, s19
	v_pk_fma_f32 v[94:95], v[48:49], s[36:37], v[68:69] neg_lo:[1,0,0] neg_hi:[1,0,0]
	v_pk_fma_f32 v[2:3], v[48:49], s[36:37], v[68:69]
	v_pk_mul_f32 v[110:111], v[228:229], s[64:65]
	v_mov_b32_e32 v95, v3
	v_pk_add_f32 v[98:99], v[94:95], v[88:89]
	v_pk_mul_f32 v[94:95], v[232:233], s[52:53]
	v_pk_fma_f32 v[108:109], v[254:255], s[60:61], v[110:111]
	v_pk_fma_f32 v[102:103], v[54:55], s[16:17], v[94:95] neg_lo:[1,0,0] neg_hi:[1,0,0]
	v_pk_fma_f32 v[88:89], v[54:55], s[16:17], v[94:95]
	v_pk_mul_f32 v[172:173], v[74:75], s[62:63]
	v_mov_b32_e32 v103, v89
	v_pk_add_f32 v[104:105], v[102:103], v[98:99]
	v_pk_mul_f32 v[102:103], v[230:231], s[74:75]
	v_pk_fma_f32 v[112:113], v[226:227], s[34:35], v[172:173]
	v_pk_fma_f32 v[106:107], v[248:249], s[22:23], v[102:103] neg_lo:[1,0,0] neg_hi:[1,0,0]
	v_pk_fma_f32 v[98:99], v[248:249], s[22:23], v[102:103]
	v_pk_mul_f32 v[122:123], v[84:85], s[56:57]
	v_mov_b32_e32 v107, v99
	v_pk_add_f32 v[104:105], v[106:107], v[104:105]
	v_pk_fma_f32 v[106:107], v[254:255], s[60:61], v[110:111] neg_lo:[1,0,0] neg_hi:[1,0,0]
	v_pk_fma_f32 v[120:121], v[240:241], s[24:25], v[122:123]
	v_mov_b32_e32 v107, v109
	v_pk_add_f32 v[104:105], v[106:107], v[104:105]
	v_pk_fma_f32 v[106:107], v[226:227], s[34:35], v[172:173] neg_lo:[1,0,0] neg_hi:[1,0,0]
	v_pk_mul_f32 v[116:117], v[238:239], s[58:59]
	v_mov_b32_e32 v107, v113
	v_pk_add_f32 v[176:177], v[106:107], v[104:105]
	v_pk_fma_f32 v[104:105], v[240:241], s[24:25], v[122:123] neg_lo:[1,0,0] neg_hi:[1,0,0]
	v_pk_fma_f32 v[114:115], v[36:37], s[30:31], v[116:117] neg_lo:[1,0,0] neg_hi:[1,0,0]
	v_mov_b32_e32 v105, v121
	v_pk_add_f32 v[106:107], v[0:1], v[104:105]
	v_pk_fma_f32 v[104:105], v[36:37], s[30:31], v[116:117]
	s_mov_b32 s39, s15
	v_mov_b32_e32 v115, v105
	v_pk_add_f32 v[118:119], v[114:115], v[106:107]
	v_pk_mul_f32 v[114:115], v[236:237], s[62:63]
	v_pk_mul_f32 v[252:253], v[238:239], s[54:55]
	v_pk_fma_f32 v[124:125], v[42:43], s[34:35], v[114:115] neg_lo:[1,0,0] neg_hi:[1,0,0]
	v_pk_fma_f32 v[106:107], v[42:43], s[34:35], v[114:115]
	v_pk_fma_f32 v[70:71], v[36:37], s[28:29], v[252:253] neg_lo:[1,0,0] neg_hi:[1,0,0]
	v_mov_b32_e32 v125, v107
	v_pk_add_f32 v[126:127], v[124:125], v[118:119]
	v_pk_mul_f32 v[124:125], v[234:235], s[52:53]
	s_mov_b32 s52, s15
	v_pk_fma_f32 v[128:129], v[48:49], s[16:17], v[124:125] neg_lo:[1,0,0] neg_hi:[1,0,0]
	v_pk_fma_f32 v[118:119], v[48:49], s[16:17], v[124:125]
	s_mov_b32 s53, s38
	v_mov_b32_e32 v129, v119
	v_pk_add_f32 v[130:131], v[128:129], v[126:127]
	v_pk_mul_f32 v[128:129], v[232:233], s[48:49]
	v_pk_fma_f32 v[184:185], v[36:37], s[28:29], v[252:253]
	v_pk_fma_f32 v[132:133], v[54:55], s[20:21], v[128:129] neg_lo:[1,0,0] neg_hi:[1,0,0]
	v_pk_fma_f32 v[126:127], v[54:55], s[20:21], v[128:129]
	v_mov_b32_e32 v71, v185
	v_mov_b32_e32 v133, v127
	v_pk_add_f32 v[134:135], v[132:133], v[130:131]
	v_pk_mul_f32 v[132:133], v[230:231], s[52:53]
	v_accvgpr_write_b32 a0, v80
	v_pk_fma_f32 v[136:137], v[248:249], s[38:39], v[132:133] neg_lo:[1,0,0] neg_hi:[1,0,0]
	v_pk_fma_f32 v[130:131], v[248:249], s[38:39], v[132:133]
	v_accvgpr_write_b32 a185, v13
	v_mov_b32_e32 v137, v131
	v_pk_add_f32 v[138:139], v[136:137], v[134:135]
	v_pk_mul_f32 v[136:137], v[228:229], s[42:43]
	v_accvgpr_write_b32 a184, v12
	v_pk_fma_f32 v[140:141], v[254:255], s[8:9], v[136:137] neg_lo:[1,0,0] neg_hi:[1,0,0]
	v_pk_fma_f32 v[134:135], v[254:255], s[8:9], v[136:137]
	v_accvgpr_write_b32 a159, v15
	;; [unrolled: 7-line block ×3, first 2 shown]
	v_mov_b32_e32 v139, v245
	v_pk_add_f32 v[138:139], v[138:139], v[180:181]
	ds_write2_b64 v155, v[176:177], v[138:139] offset0:4 offset1:5
	v_pk_mul_f32 v[138:139], v[84:85], s[44:45]
	v_accvgpr_write_b32 a48, v26
	v_pk_fma_f32 v[176:177], v[240:241], s[18:19], v[138:139] neg_lo:[1,0,0] neg_hi:[1,0,0]
	v_pk_fma_f32 v[180:181], v[240:241], s[18:19], v[138:139]
	v_accvgpr_write_b32 a77, v33
	v_mov_b32_e32 v177, v181
	v_pk_add_f32 v[176:177], v[0:1], v[176:177]
	v_accvgpr_write_b32 a76, v32
	v_pk_add_f32 v[70:71], v[70:71], v[176:177]
	v_pk_mul_f32 v[176:177], v[236:237], s[42:43]
	v_accvgpr_write_b32 a75, v31
	v_pk_fma_f32 v[188:189], v[42:43], s[8:9], v[176:177] neg_lo:[1,0,0] neg_hi:[1,0,0]
	v_pk_fma_f32 v[142:143], v[42:43], s[8:9], v[176:177]
	v_accvgpr_write_b32 a74, v30
	v_mov_b32_e32 v189, v143
	v_pk_add_f32 v[70:71], v[188:189], v[70:71]
	v_pk_mul_f32 v[188:189], v[234:235], s[74:75]
	v_accvgpr_write_b32 a144, v28
	v_pk_fma_f32 v[80:81], v[48:49], s[22:23], v[188:189] neg_lo:[1,0,0] neg_hi:[1,0,0]
	v_pk_fma_f32 v[196:197], v[48:49], s[22:23], v[188:189]
	v_accvgpr_write_b32 a29, v35
	v_mov_b32_e32 v81, v197
	v_pk_add_f32 v[70:71], v[80:81], v[70:71]
	v_pk_mul_f32 v[80:81], v[232:233], s[52:53]
	v_accvgpr_write_b32 a1, v90
	v_pk_fma_f32 v[200:201], v[54:55], s[38:39], v[80:81] neg_lo:[1,0,0] neg_hi:[1,0,0]
	v_pk_fma_f32 v[204:205], v[54:55], s[38:39], v[80:81]
	v_pk_fma_f32 v[10:11], v[240:241], s[14:15], v[10:11] neg_lo:[0,0,1] neg_hi:[0,0,1]
	v_mov_b32_e32 v201, v205
	v_pk_add_f32 v[70:71], v[200:201], v[70:71]
	v_pk_mul_f32 v[200:201], v[230:231], s[50:51]
	v_mov_b32_e32 v9, v11
	v_pk_fma_f32 v[208:209], v[248:249], s[10:11], v[200:201] neg_lo:[1,0,0] neg_hi:[1,0,0]
	v_pk_fma_f32 v[212:213], v[248:249], s[10:11], v[200:201]
	v_pk_fma_f32 v[10:11], v[36:37], s[20:21], v[66:67] neg_lo:[0,0,1] neg_hi:[0,0,1]
	v_mov_b32_e32 v209, v213
	v_pk_add_f32 v[70:71], v[208:209], v[70:71]
	v_pk_mul_f32 v[208:209], v[228:229], s[48:49]
	v_pk_add_f32 v[8:9], v[0:1], v[8:9]
	v_pk_fma_f32 v[216:217], v[254:255], s[20:21], v[208:209] neg_lo:[1,0,0] neg_hi:[1,0,0]
	v_pk_fma_f32 v[220:221], v[254:255], s[20:21], v[208:209]
	v_mov_b32_e32 v165, v11
	v_mov_b32_e32 v217, v221
	v_pk_add_f32 v[70:71], v[216:217], v[70:71]
	v_pk_mul_f32 v[216:217], v[74:75], s[70:71]
	v_pk_fma_f32 v[10:11], v[42:43], s[28:29], v[64:65] neg_lo:[0,0,1] neg_hi:[0,0,1]
	v_pk_fma_f32 v[224:225], v[226:227], s[40:41], v[216:217] neg_lo:[1,0,0] neg_hi:[1,0,0]
	v_pk_fma_f32 v[12:13], v[226:227], s[40:41], v[216:217]
	v_pk_add_f32 v[8:9], v[164:165], v[8:9]
	v_mov_b32_e32 v225, v13
	v_pk_add_f32 v[14:15], v[224:225], v[70:71]
	v_pk_mul_f32 v[70:71], v[84:85], s[74:75]
	v_mov_b32_e32 v167, v11
	v_pk_fma_f32 v[224:225], v[240:241], s[22:23], v[70:71] neg_lo:[1,0,0] neg_hi:[1,0,0]
	v_pk_fma_f32 v[16:17], v[240:241], s[22:23], v[70:71]
	v_pk_fma_f32 v[10:11], v[48:49], s[36:37], v[68:69] neg_lo:[0,0,1] neg_hi:[0,0,1]
	v_mov_b32_e32 v225, v17
	v_pk_add_f32 v[18:19], v[0:1], v[224:225]
	v_pk_mul_f32 v[224:225], v[238:239], s[70:71]
	v_pk_add_f32 v[8:9], v[166:167], v[8:9]
	v_pk_fma_f32 v[20:21], v[36:37], s[40:41], v[224:225] neg_lo:[1,0,0] neg_hi:[1,0,0]
	v_pk_fma_f32 v[22:23], v[36:37], s[40:41], v[224:225]
	v_mov_b32_e32 v3, v11
	v_mov_b32_e32 v21, v23
	v_pk_add_f32 v[18:19], v[20:21], v[18:19]
	v_pk_mul_f32 v[20:21], v[236:237], s[46:47]
	v_pk_mul_f32 v[236:237], v[236:237], s[74:75]
	v_pk_fma_f32 v[24:25], v[42:43], s[14:15], v[20:21] neg_lo:[1,0,0] neg_hi:[1,0,0]
	v_pk_fma_f32 v[26:27], v[42:43], s[14:15], v[20:21]
	v_pk_fma_f32 v[222:223], v[42:43], s[22:23], v[236:237]
	v_mov_b32_e32 v25, v27
	v_pk_add_f32 v[18:19], v[24:25], v[18:19]
	v_pk_mul_f32 v[24:25], v[234:235], s[64:65]
	v_pk_mul_f32 v[234:235], v[234:235], s[62:63]
	v_pk_fma_f32 v[28:29], v[48:49], s[60:61], v[24:25] neg_lo:[1,0,0] neg_hi:[1,0,0]
	v_pk_fma_f32 v[30:31], v[48:49], s[60:61], v[24:25]
	v_pk_fma_f32 v[158:159], v[48:49], s[34:35], v[234:235]
	;; [unrolled: 7-line block ×6, first 2 shown]
	v_mov_b32_e32 v203, v211
	v_pk_add_f32 v[18:19], v[202:203], v[18:19]
	ds_write2_b64 v155, v[14:15], v[18:19] offset0:6 offset1:7
	v_pk_mul_f32 v[14:15], v[84:85], s[48:49]
	v_pk_mul_f32 v[202:203], v[238:239], s[68:69]
	v_pk_fma_f32 v[18:19], v[240:241], s[20:21], v[14:15] neg_lo:[1,0,0] neg_hi:[1,0,0]
	v_pk_fma_f32 v[84:85], v[240:241], s[20:21], v[14:15]
	v_pk_fma_f32 v[238:239], v[36:37], s[36:37], v[202:203] neg_lo:[1,0,0] neg_hi:[1,0,0]
	v_mov_b32_e32 v19, v85
	v_pk_fma_f32 v[214:215], v[36:37], s[36:37], v[202:203]
	v_pk_add_f32 v[18:19], v[0:1], v[18:19]
	v_mov_b32_e32 v239, v215
	v_pk_add_f32 v[18:19], v[238:239], v[18:19]
	v_pk_fma_f32 v[238:239], v[42:43], s[22:23], v[236:237] neg_lo:[1,0,0] neg_hi:[1,0,0]
	v_pk_fma_f32 v[14:15], v[240:241], s[20:21], v[14:15] neg_lo:[0,0,1] neg_hi:[0,0,1]
	v_mov_b32_e32 v239, v223
	v_pk_add_f32 v[18:19], v[238:239], v[18:19]
	v_pk_fma_f32 v[238:239], v[48:49], s[34:35], v[234:235] neg_lo:[1,0,0] neg_hi:[1,0,0]
	v_mov_b32_e32 v85, v15
	v_mov_b32_e32 v239, v159
	v_pk_add_f32 v[18:19], v[238:239], v[18:19]
	v_pk_fma_f32 v[238:239], v[54:55], s[18:19], v[232:233] neg_lo:[1,0,0] neg_hi:[1,0,0]
	v_pk_add_f32 v[14:15], v[0:1], v[84:85]
	v_pk_fma_f32 v[84:85], v[36:37], s[36:37], v[202:203] neg_lo:[0,0,1] neg_hi:[0,0,1]
	v_mov_b32_e32 v239, v163
	v_mov_b32_e32 v215, v85
	v_pk_fma_f32 v[84:85], v[42:43], s[22:23], v[236:237] neg_lo:[0,0,1] neg_hi:[0,0,1]
	v_pk_add_f32 v[18:19], v[238:239], v[18:19]
	v_pk_fma_f32 v[238:239], v[248:249], s[40:41], v[230:231] neg_lo:[1,0,0] neg_hi:[1,0,0]
	v_pk_add_f32 v[14:15], v[214:215], v[14:15]
	v_mov_b32_e32 v223, v85
	v_pk_fma_f32 v[84:85], v[48:49], s[34:35], v[234:235] neg_lo:[0,0,1] neg_hi:[0,0,1]
	v_mov_b32_e32 v239, v243
	v_pk_add_f32 v[14:15], v[222:223], v[14:15]
	v_mov_b32_e32 v159, v85
	v_pk_fma_f32 v[84:85], v[54:55], s[18:19], v[232:233] neg_lo:[0,0,1] neg_hi:[0,0,1]
	v_pk_add_f32 v[18:19], v[238:239], v[18:19]
	v_pk_fma_f32 v[238:239], v[254:255], s[24:25], v[228:229] neg_lo:[1,0,0] neg_hi:[1,0,0]
	v_pk_add_f32 v[14:15], v[158:159], v[14:15]
	v_mov_b32_e32 v163, v85
	v_pk_fma_f32 v[84:85], v[248:249], s[40:41], v[230:231] neg_lo:[0,0,1] neg_hi:[0,0,1]
	v_mov_b32_e32 v239, v251
	v_pk_add_f32 v[14:15], v[162:163], v[14:15]
	;; [unrolled: 9-line block ×3, first 2 shown]
	v_mov_b32_e32 v247, v75
	v_pk_add_f32 v[18:19], v[238:239], v[18:19]
	v_pk_add_f32 v[14:15], v[246:247], v[14:15]
	ds_write2_b64 v155, v[18:19], v[14:15] offset0:8 offset1:9
	v_pk_fma_f32 v[14:15], v[240:241], s[22:23], v[70:71] neg_lo:[0,0,1] neg_hi:[0,0,1]
	v_pk_fma_f32 v[18:19], v[36:37], s[28:29], v[252:253] neg_lo:[0,0,1] neg_hi:[0,0,1]
	v_mov_b32_e32 v17, v15
	v_pk_add_f32 v[14:15], v[0:1], v[16:17]
	v_pk_fma_f32 v[16:17], v[36:37], s[40:41], v[224:225] neg_lo:[0,0,1] neg_hi:[0,0,1]
	v_mov_b32_e32 v185, v19
	v_mov_b32_e32 v23, v17
	v_pk_fma_f32 v[16:17], v[42:43], s[14:15], v[20:21] neg_lo:[0,0,1] neg_hi:[0,0,1]
	v_pk_fma_f32 v[18:19], v[42:43], s[8:9], v[176:177] neg_lo:[0,0,1] neg_hi:[0,0,1]
	v_mov_b32_e32 v27, v17
	v_pk_fma_f32 v[16:17], v[48:49], s[60:61], v[24:25] neg_lo:[0,0,1] neg_hi:[0,0,1]
	v_pk_add_f32 v[14:15], v[22:23], v[14:15]
	v_mov_b32_e32 v31, v17
	v_pk_fma_f32 v[16:17], v[54:55], s[8:9], v[28:29] neg_lo:[0,0,1] neg_hi:[0,0,1]
	v_mov_b32_e32 v143, v19
	v_mov_b32_e32 v35, v17
	v_pk_fma_f32 v[16:17], v[248:249], s[20:21], v[32:33] neg_lo:[0,0,1] neg_hi:[0,0,1]
	v_pk_fma_f32 v[18:19], v[48:49], s[22:23], v[188:189] neg_lo:[0,0,1] neg_hi:[0,0,1]
	v_mov_b32_e32 v183, v17
	v_pk_fma_f32 v[16:17], v[254:255], s[34:35], v[90:91] neg_lo:[0,0,1] neg_hi:[0,0,1]
	v_pk_add_f32 v[14:15], v[26:27], v[14:15]
	v_mov_b32_e32 v195, v17
	v_pk_fma_f32 v[16:17], v[226:227], s[24:25], v[186:187] neg_lo:[0,0,1] neg_hi:[0,0,1]
	v_mov_b32_e32 v197, v19
	v_mov_b32_e32 v211, v17
	v_pk_fma_f32 v[16:17], v[240:241], s[18:19], v[138:139] neg_lo:[0,0,1] neg_hi:[0,0,1]
	v_pk_fma_f32 v[18:19], v[54:55], s[38:39], v[80:81] neg_lo:[0,0,1] neg_hi:[0,0,1]
	v_mov_b32_e32 v181, v17
	v_pk_add_f32 v[16:17], v[0:1], v[180:181]
	v_pk_add_f32 v[14:15], v[30:31], v[14:15]
	;; [unrolled: 1-line block ×3, first 2 shown]
	v_mov_b32_e32 v205, v19
	v_pk_add_f32 v[16:17], v[142:143], v[16:17]
	v_pk_fma_f32 v[18:19], v[248:249], s[10:11], v[200:201] neg_lo:[0,0,1] neg_hi:[0,0,1]
	v_pk_add_f32 v[16:17], v[196:197], v[16:17]
	v_pk_add_f32 v[2:3], v[2:3], v[8:9]
	v_pk_fma_f32 v[8:9], v[54:55], s[16:17], v[94:95] neg_lo:[0,0,1] neg_hi:[0,0,1]
	v_pk_add_f32 v[14:15], v[34:35], v[14:15]
	v_pk_add_f32 v[16:17], v[204:205], v[16:17]
	v_mov_b32_e32 v213, v19
	v_pk_fma_f32 v[18:19], v[254:255], s[20:21], v[208:209] neg_lo:[0,0,1] neg_hi:[0,0,1]
	v_mov_b32_e32 v89, v9
	v_pk_fma_f32 v[8:9], v[248:249], s[22:23], v[102:103] neg_lo:[0,0,1] neg_hi:[0,0,1]
	v_pk_add_f32 v[14:15], v[182:183], v[14:15]
	v_pk_add_f32 v[16:17], v[212:213], v[16:17]
	v_mov_b32_e32 v221, v19
	v_pk_fma_f32 v[18:19], v[226:227], s[40:41], v[216:217] neg_lo:[0,0,1] neg_hi:[0,0,1]
	v_mov_b32_e32 v99, v9
	v_pk_fma_f32 v[8:9], v[254:255], s[60:61], v[110:111] neg_lo:[0,0,1] neg_hi:[0,0,1]
	v_accvgpr_read_b32 v10, a170
	v_pk_add_f32 v[14:15], v[194:195], v[14:15]
	v_pk_add_f32 v[16:17], v[220:221], v[16:17]
	v_mov_b32_e32 v13, v19
	v_mov_b32_e32 v109, v9
	v_pk_fma_f32 v[8:9], v[226:227], s[34:35], v[172:173] neg_lo:[0,0,1] neg_hi:[0,0,1]
	v_accvgpr_read_b32 v11, a171
	v_pk_add_f32 v[14:15], v[210:211], v[14:15]
	v_pk_add_f32 v[12:13], v[12:13], v[16:17]
	v_mov_b32_e32 v113, v9
	v_accvgpr_read_b32 v8, a184
	v_pk_fma_f32 v[10:11], v[36:37], s[14:15], v[10:11] neg_lo:[0,0,1] neg_hi:[0,0,1]
	ds_write2_b64 v155, v[14:15], v[12:13] offset0:10 offset1:11
	v_pk_fma_f32 v[12:13], v[240:241], s[24:25], v[122:123] neg_lo:[0,0,1] neg_hi:[0,0,1]
	v_accvgpr_read_b32 v9, a185
	v_mov_b32_e32 v101, v11
	v_accvgpr_read_b32 v10, a172
	v_mov_b32_e32 v121, v13
	v_pk_fma_f32 v[14:15], v[36:37], s[30:31], v[116:117] neg_lo:[0,0,1] neg_hi:[0,0,1]
	v_pk_fma_f32 v[8:9], v[36:37], s[18:19], v[8:9] neg_lo:[0,0,1] neg_hi:[0,0,1]
	v_accvgpr_read_b32 v11, a173
	v_pk_add_f32 v[12:13], v[0:1], v[120:121]
	v_mov_b32_e32 v105, v15
	v_pk_fma_f32 v[14:15], v[42:43], s[34:35], v[114:115] neg_lo:[0,0,1] neg_hi:[0,0,1]
	v_mov_b32_e32 v77, v9
	v_pk_fma_f32 v[8:9], v[42:43], s[26:27], v[168:169] neg_lo:[0,0,1] neg_hi:[0,0,1]
	v_pk_fma_f32 v[10:11], v[42:43], s[18:19], v[10:11] neg_lo:[0,0,1] neg_hi:[0,0,1]
	v_pk_add_f32 v[12:13], v[104:105], v[12:13]
	v_mov_b32_e32 v107, v15
	v_pk_fma_f32 v[14:15], v[48:49], s[16:17], v[124:125] neg_lo:[0,0,1] neg_hi:[0,0,1]
	v_mov_b32_e32 v219, v9
	v_pk_fma_f32 v[8:9], v[48:49], s[28:29], v[146:147] neg_lo:[0,0,1] neg_hi:[0,0,1]
	v_mov_b32_e32 v171, v11
	v_accvgpr_read_b32 v10, a168
	v_pk_add_f32 v[12:13], v[106:107], v[12:13]
	v_mov_b32_e32 v119, v15
	v_pk_fma_f32 v[14:15], v[54:55], s[20:21], v[128:129] neg_lo:[0,0,1] neg_hi:[0,0,1]
	v_mov_b32_e32 v145, v9
	v_pk_fma_f32 v[8:9], v[54:55], s[34:35], v[150:151] neg_lo:[0,0,1] neg_hi:[0,0,1]
	v_accvgpr_read_b32 v11, a169
	v_pk_add_f32 v[12:13], v[118:119], v[12:13]
	v_mov_b32_e32 v127, v15
	v_pk_fma_f32 v[14:15], v[248:249], s[38:39], v[132:133] neg_lo:[0,0,1] neg_hi:[0,0,1]
	v_mov_b32_e32 v149, v9
	v_pk_fma_f32 v[8:9], v[248:249], s[8:9], v[92:93] neg_lo:[0,0,1] neg_hi:[0,0,1]
	v_pk_fma_f32 v[10:11], v[48:49], s[20:21], v[10:11] neg_lo:[0,0,1] neg_hi:[0,0,1]
	v_pk_add_f32 v[12:13], v[126:127], v[12:13]
	v_mov_b32_e32 v131, v15
	v_pk_fma_f32 v[14:15], v[254:255], s[8:9], v[136:137] neg_lo:[0,0,1] neg_hi:[0,0,1]
	v_pk_add_f32 v[2:3], v[88:89], v[2:3]
	v_mov_b32_e32 v153, v9
	v_pk_fma_f32 v[8:9], v[254:255], s[14:15], v[82:83] neg_lo:[0,0,1] neg_hi:[0,0,1]
	v_mov_b32_e32 v97, v11
	v_accvgpr_read_b32 v10, a176
	v_pk_add_f32 v[12:13], v[130:131], v[12:13]
	v_mov_b32_e32 v135, v15
	v_pk_fma_f32 v[14:15], v[226:227], s[18:19], v[140:141] neg_lo:[0,0,1] neg_hi:[0,0,1]
	v_pk_add_f32 v[2:3], v[98:99], v[2:3]
	v_mov_b32_e32 v157, v9
	v_pk_fma_f32 v[8:9], v[226:227], s[22:23], v[72:73] neg_lo:[0,0,1] neg_hi:[0,0,1]
	v_accvgpr_read_b32 v11, a177
	v_pk_add_f32 v[12:13], v[134:135], v[12:13]
	v_mov_b32_e32 v245, v15
	v_pk_add_f32 v[2:3], v[108:109], v[2:3]
	v_mov_b32_e32 v161, v9
	v_accvgpr_read_b32 v8, a174
	v_pk_fma_f32 v[10:11], v[54:55], s[30:31], v[10:11] neg_lo:[0,0,1] neg_hi:[0,0,1]
	v_pk_add_f32 v[12:13], v[244:245], v[12:13]
	v_pk_add_f32 v[2:3], v[112:113], v[2:3]
	v_accvgpr_read_b32 v9, a175
	v_mov_b32_e32 v191, v11
	v_accvgpr_read_b32 v10, a178
	ds_write2_b64 v155, v[12:13], v[2:3] offset0:12 offset1:13
	v_pk_fma_f32 v[2:3], v[240:241], s[16:17], v[178:179] neg_lo:[0,0,1] neg_hi:[0,0,1]
	v_pk_fma_f32 v[8:9], v[240:241], s[10:11], v[8:9] neg_lo:[0,0,1] neg_hi:[0,0,1]
	v_accvgpr_read_b32 v11, a179
	v_mov_b32_e32 v79, v3
	v_mov_b32_e32 v175, v9
	v_pk_fma_f32 v[10:11], v[248:249], s[28:29], v[10:11] neg_lo:[0,0,1] neg_hi:[0,0,1]
	v_pk_add_f32 v[2:3], v[0:1], v[78:79]
	v_pk_add_f32 v[8:9], v[0:1], v[174:175]
	v_mov_b32_e32 v199, v11
	v_accvgpr_read_b32 v10, a180
	v_pk_add_f32 v[2:3], v[76:77], v[2:3]
	v_pk_add_f32 v[8:9], v[100:101], v[8:9]
	v_accvgpr_read_b32 v11, a181
	v_pk_add_f32 v[2:3], v[218:219], v[2:3]
	v_pk_add_f32 v[8:9], v[170:171], v[8:9]
	v_pk_fma_f32 v[10:11], v[254:255], s[40:41], v[10:11] neg_lo:[0,0,1] neg_hi:[0,0,1]
	v_pk_add_f32 v[2:3], v[144:145], v[2:3]
	v_pk_add_f32 v[8:9], v[96:97], v[8:9]
	v_mov_b32_e32 v207, v11
	v_accvgpr_read_b32 v10, a182
	v_pk_add_f32 v[2:3], v[148:149], v[2:3]
	v_pk_add_f32 v[8:9], v[190:191], v[8:9]
	v_accvgpr_read_b32 v11, a183
	v_pk_add_f32 v[2:3], v[152:153], v[2:3]
	v_pk_add_f32 v[8:9], v[198:199], v[8:9]
	v_pk_fma_f32 v[10:11], v[226:227], s[36:37], v[10:11] neg_lo:[0,0,1] neg_hi:[0,0,1]
	v_pk_add_f32 v[2:3], v[156:157], v[2:3]
	v_pk_add_f32 v[8:9], v[206:207], v[8:9]
	v_mov_b32_e32 v61, v11
	v_pk_add_f32 v[2:3], v[160:161], v[2:3]
	v_pk_add_f32 v[8:9], v[60:61], v[8:9]
	ds_write2_b64 v155, v[2:3], v[8:9] offset0:14 offset1:15
	v_accvgpr_read_b32 v2, a166
	v_accvgpr_read_b32 v3, a167
	v_pk_fma_f32 v[2:3], v[240:241], s[8:9], v[2:3] neg_lo:[0,0,1] neg_hi:[0,0,1]
	v_accvgpr_read_b32 v70, a1
	v_mov_b32_e32 v87, v3
	v_accvgpr_read_b32 v2, a152
	v_accvgpr_read_b32 v3, a153
	v_pk_fma_f32 v[2:3], v[36:37], s[10:11], v[2:3] neg_lo:[0,0,1] neg_hi:[0,0,1]
	v_pk_add_f32 v[0:1], v[0:1], v[86:87]
	v_mov_b32_e32 v53, v3
	v_accvgpr_read_b32 v2, a154
	v_accvgpr_read_b32 v3, a155
	v_pk_fma_f32 v[2:3], v[42:43], s[16:17], v[2:3] neg_lo:[0,0,1] neg_hi:[0,0,1]
	v_pk_add_f32 v[0:1], v[52:53], v[0:1]
	;; [unrolled: 5-line block ×7, first 2 shown]
	v_mov_b32_e32 v39, v3
	v_pk_add_f32 v[0:1], v[38:39], v[0:1]
	ds_write_b64 v155, v[0:1] offset:128
	v_accvgpr_read_b32 v0, a96
	v_mul_u32_u24_e32 v0, 17, v0
	v_accvgpr_write_b32 a146, v0
	s_and_saveexec_b64 s[20:21], vcc
	s_cbranch_execz .LBB0_7
; %bb.6:
	v_accvgpr_read_b32 v14, a106
	v_pk_mul_f32 v[10:11], v[56:57], s[16:17]
	v_accvgpr_read_b32 v15, a107
	v_pk_add_f32 v[10:11], v[14:15], v[10:11] neg_lo:[0,1] neg_hi:[0,1]
	v_accvgpr_read_b32 v14, a110
	v_pk_mul_f32 v[12:13], v[62:63], s[18:19]
	v_accvgpr_read_b32 v15, a111
	v_pk_add_f32 v[12:13], v[14:15], v[12:13] neg_lo:[0,1] neg_hi:[0,1]
	;; [unrolled: 4-line block ×5, first 2 shown]
	v_accvgpr_read_b32 v14, a86
	v_pk_add_f32 v[6:7], v[6:7], v[4:5]
	v_accvgpr_read_b32 v15, a87
	v_accvgpr_read_b32 v16, a88
	v_accvgpr_read_b32 v17, a89
	v_pk_add_f32 v[6:7], v[14:15], v[6:7]
	v_accvgpr_read_b32 v1, a29
	v_pk_add_f32 v[6:7], v[16:17], v[6:7]
	v_accvgpr_read_b32 v14, a78
	v_accvgpr_read_b32 v15, a79
	;; [unrolled: 1-line block ×4, first 2 shown]
	v_pk_add_f32 v[6:7], v[14:15], v[6:7]
	v_pk_add_f32 v[0:1], v[0:1], v[4:5]
	;; [unrolled: 1-line block ×3, first 2 shown]
	v_accvgpr_read_b32 v16, a70
	v_accvgpr_read_b32 v17, a71
	;; [unrolled: 1-line block ×4, first 2 shown]
	v_pk_add_f32 v[6:7], v[16:17], v[6:7]
	v_accvgpr_read_b32 v14, a146
	v_pk_add_f32 v[6:7], v[18:19], v[6:7]
	v_accvgpr_read_b32 v16, a66
	v_accvgpr_read_b32 v17, a67
	;; [unrolled: 1-line block ×4, first 2 shown]
	v_pk_add_f32 v[6:7], v[16:17], v[6:7]
	v_accvgpr_read_b32 v3, a97
	v_pk_add_f32 v[6:7], v[18:19], v[6:7]
	v_accvgpr_read_b32 v16, a74
	v_accvgpr_read_b32 v17, a75
	;; [unrolled: 1-line block ×4, first 2 shown]
	v_pk_add_f32 v[6:7], v[16:17], v[6:7]
	v_lshl_add_u32 v14, v14, 3, v70
	v_pk_add_f32 v[6:7], v[18:19], v[6:7]
	v_accvgpr_read_b32 v16, a82
	v_accvgpr_read_b32 v17, a83
	;; [unrolled: 1-line block ×4, first 2 shown]
	v_pk_add_f32 v[6:7], v[16:17], v[6:7]
	v_accvgpr_read_b32 v9, a101
	v_pk_add_f32 v[6:7], v[18:19], v[6:7]
	v_accvgpr_read_b32 v16, a92
	v_accvgpr_read_b32 v17, a93
	;; [unrolled: 1-line block ×4, first 2 shown]
	v_pk_add_f32 v[6:7], v[16:17], v[6:7]
	v_accvgpr_read_b32 v16, a90
	v_pk_add_f32 v[6:7], v[18:19], v[6:7]
	v_accvgpr_read_b32 v17, a91
	;; [unrolled: 2-line block ×3, first 2 shown]
	v_accvgpr_read_b32 v17, a117
	v_pk_add_f32 v[0:1], v[16:17], v[0:1]
	v_accvgpr_read_b32 v16, a114
	v_accvgpr_read_b32 v17, a119
	v_pk_add_f32 v[0:1], v[16:17], v[0:1]
	v_accvgpr_read_b32 v16, a116
	v_accvgpr_read_b32 v17, a121
	v_pk_add_f32 v[0:1], v[16:17], v[0:1]
	v_accvgpr_read_b32 v16, a126
	v_accvgpr_read_b32 v17, a133
	v_pk_add_f32 v[0:1], v[16:17], v[0:1]
	v_accvgpr_read_b32 v16, a132
	v_accvgpr_read_b32 v17, a139
	v_pk_add_f32 v[0:1], v[16:17], v[0:1]
	v_accvgpr_read_b32 v16, a138
	v_accvgpr_read_b32 v17, a145
	v_pk_add_f32 v[0:1], v[16:17], v[0:1]
	v_accvgpr_read_b32 v16, a142
	v_accvgpr_read_b32 v17, a149
	v_pk_add_f32 v[0:1], v[16:17], v[0:1]
	ds_write2_b64 v14, v[6:7], v[0:1] offset1:1
	v_pk_add_f32 v[0:1], v[2:3], v[4:5]
	v_accvgpr_read_b32 v2, a108
	v_pk_add_f32 v[0:1], v[8:9], v[0:1]
	v_accvgpr_read_b32 v3, a115
	;; [unrolled: 2-line block ×3, first 2 shown]
	v_accvgpr_read_b32 v3, a125
	v_pk_add_f32 v[0:1], v[2:3], v[0:1]
	v_accvgpr_read_b32 v2, a124
	v_accvgpr_read_b32 v3, a131
	v_pk_add_f32 v[0:1], v[2:3], v[0:1]
	v_accvgpr_read_b32 v2, a130
	;; [unrolled: 3-line block ×3, first 2 shown]
	v_accvgpr_read_b32 v3, a143
	v_accvgpr_read_b32 v11, a123
	v_pk_add_f32 v[0:1], v[2:3], v[0:1]
	v_accvgpr_read_b32 v2, a140
	v_accvgpr_read_b32 v3, a147
	;; [unrolled: 1-line block ×3, first 2 shown]
	v_pk_add_f32 v[0:1], v[2:3], v[0:1]
	v_pk_add_f32 v[2:3], v[10:11], v[4:5]
	v_accvgpr_read_b32 v20, a100
	v_accvgpr_read_b32 v21, a113
	v_pk_add_f32 v[2:3], v[12:13], v[2:3]
	v_accvgpr_read_b32 v4, a120
	v_pk_add_f32 v[2:3], v[20:21], v[2:3]
	;; [unrolled: 2-line block ×3, first 2 shown]
	v_accvgpr_read_b32 v4, a122
	v_accvgpr_read_b32 v5, a129
	v_pk_add_f32 v[2:3], v[4:5], v[2:3]
	v_accvgpr_read_b32 v4, a128
	v_accvgpr_read_b32 v5, a135
	v_pk_add_f32 v[2:3], v[4:5], v[2:3]
	;; [unrolled: 3-line block ×4, first 2 shown]
	ds_write2_b64 v14, v[0:1], v[2:3] offset0:2 offset1:3
	v_accvgpr_read_b32 v0, a52
	v_accvgpr_read_b32 v2, a54
	v_accvgpr_read_b32 v1, a53
	v_accvgpr_read_b32 v3, a55
	ds_write2_b64 v14, v[2:3], v[0:1] offset0:4 offset1:5
	v_accvgpr_read_b32 v0, a56
	v_accvgpr_read_b32 v2, a60
	v_accvgpr_read_b32 v1, a57
	v_accvgpr_read_b32 v3, a61
	ds_write2_b64 v14, v[0:1], v[2:3] offset0:6 offset1:7
	v_accvgpr_read_b32 v0, a62
	v_accvgpr_read_b32 v2, a64
	v_accvgpr_read_b32 v1, a63
	v_accvgpr_read_b32 v3, a65
	ds_write2_b64 v14, v[0:1], v[2:3] offset0:8 offset1:9
	v_accvgpr_read_b32 v0, a50
	v_accvgpr_read_b32 v2, a58
	v_accvgpr_read_b32 v1, a51
	v_accvgpr_read_b32 v3, a59
	ds_write2_b64 v14, v[2:3], v[0:1] offset0:10 offset1:11
	v_accvgpr_read_b32 v0, a46
	v_accvgpr_read_b32 v2, a48
	v_accvgpr_read_b32 v1, a47
	v_accvgpr_read_b32 v3, a49
	ds_write2_b64 v14, v[2:3], v[0:1] offset0:12 offset1:13
	v_accvgpr_read_b32 v0, a42
	v_accvgpr_read_b32 v2, a44
	v_accvgpr_read_b32 v1, a43
	v_accvgpr_read_b32 v3, a45
	ds_write2_b64 v14, v[2:3], v[0:1] offset0:14 offset1:15
	ds_write_b64 v14, a[40:41] offset:128
.LBB0_7:
	s_or_b64 exec, exec, s[20:21]
	v_accvgpr_read_b32 v128, a0
	v_lshlrev_b32_e32 v0, 4, v128
	s_waitcnt lgkmcnt(0)
	s_barrier
	global_load_dwordx4 v[8:11], v0, s[0:1]
	s_movk_i32 s9, 0xf1
	v_add_u16_e32 v0, 0x66, v128
	v_mul_lo_u16_sdwa v1, v0, s9 dst_sel:DWORD dst_unused:UNUSED_PAD src0_sel:BYTE_0 src1_sel:DWORD
	v_lshrrev_b16_e32 v1, 12, v1
	v_mul_lo_u16_e32 v1, 17, v1
	v_sub_u16_e32 v22, v0, v1
	v_lshlrev_b16_e32 v0, 1, v22
	v_and_b32_e32 v0, 0xfe, v0
	v_lshlrev_b32_e32 v0, 3, v0
	global_load_dwordx4 v[36:39], v0, s[0:1]
	v_add_u16_e32 v0, 0x55, v128
	v_mul_lo_u16_sdwa v1, v0, s9 dst_sel:DWORD dst_unused:UNUSED_PAD src0_sel:BYTE_0 src1_sel:DWORD
	v_lshrrev_b16_e32 v1, 12, v1
	v_mul_lo_u16_e32 v1, 17, v1
	v_sub_u16_e32 v23, v0, v1
	v_lshlrev_b16_e32 v0, 1, v23
	v_and_b32_e32 v0, 0xfe, v0
	v_lshlrev_b32_e32 v0, 3, v0
	global_load_dwordx4 v[32:35], v0, s[0:1]
	;; [unrolled: 9-line block ×4, first 2 shown]
	v_add_u16_e32 v42, 34, v128
	v_mul_lo_u16_sdwa v43, v42, s9 dst_sel:DWORD dst_unused:UNUSED_PAD src0_sel:BYTE_0 src1_sel:DWORD
	v_lshrrev_b16_e32 v43, 12, v43
	v_mul_lo_u16_e32 v43, 17, v43
	v_sub_u16_e32 v42, v42, v43
	v_lshlrev_b16_e32 v43, 1, v42
	v_and_b32_e32 v44, 0xff, v40
	v_and_b32_e32 v40, 0xfe, v43
	;; [unrolled: 1-line block ×4, first 2 shown]
	v_lshlrev_b32_e32 v40, 3, v40
	ds_read2_b64 v[0:3], v192 offset1:17
	ds_read2_b64 v[4:7], v192 offset0:102 offset1:119
	ds_read2_b64 v[12:15], v192 offset0:238 offset1:255
	;; [unrolled: 1-line block ×3, first 2 shown]
	ds_read_b64 v[20:21], v192 offset:2720
	v_lshl_add_u32 v92, v42, 3, v70
	v_lshl_add_u32 v91, v41, 3, v70
	global_load_dwordx4 v[40:43], v40, s[0:1]
	v_and_b32_e32 v23, 0xff, v23
	v_and_b32_e32 v22, 0xff, v22
	v_lshl_add_u32 v89, v23, 3, v70
	v_lshl_add_u32 v88, v22, 3, v70
	;; [unrolled: 1-line block ×3, first 2 shown]
	s_mov_b32 s8, 0x3f5db3d7
	v_add_u32_e32 v100, 0x800, v192
	v_accvgpr_write_b32 a74, v89
	v_accvgpr_write_b32 a29, v88
	s_mov_b32 s16, 0x3f4a47b2
	s_mov_b32 s18, 0x3eae86e6
	s_mov_b32 s20, 0x3d64c772
	s_mov_b32 s22, 0xbf08b237
	s_mov_b32 s14, 0x3f955555
	s_mov_b32 s10, 0x3f5ff5aa
	v_accvgpr_write_b32 a76, v91
	v_accvgpr_write_b32 a77, v92
	;; [unrolled: 1-line block ×3, first 2 shown]
	v_lshl_add_u32 v193, v193, 3, v154
	s_waitcnt vmcnt(5) lgkmcnt(3)
	v_pk_mul_f32 v[22:23], v[6:7], v[8:9] op_sel:[0,1]
	v_mov_b32_e32 v56, v11
	v_pk_fma_f32 v[44:45], v[6:7], v[8:9], v[22:23] op_sel:[0,0,1] op_sel_hi:[1,1,0] neg_lo:[0,0,1] neg_hi:[0,0,1]
	v_pk_fma_f32 v[6:7], v[6:7], v[8:9], v[22:23] op_sel:[0,0,1] op_sel_hi:[1,0,0]
	s_waitcnt lgkmcnt(2)
	v_pk_mul_f32 v[22:23], v[12:13], v[56:57] op_sel_hi:[1,0]
	v_mov_b32_e32 v45, v7
	v_pk_fma_f32 v[6:7], v[12:13], v[10:11], v[22:23] op_sel:[0,0,1] op_sel_hi:[1,1,0] neg_lo:[0,0,1] neg_hi:[0,0,1]
	v_pk_fma_f32 v[12:13], v[12:13], v[10:11], v[22:23] op_sel:[0,0,1] op_sel_hi:[1,0,0]
	s_waitcnt vmcnt(3) lgkmcnt(1)
	v_pk_mul_f32 v[48:49], v[16:17], v[32:33] op_sel:[0,1]
	v_mov_b32_e32 v7, v13
	v_pk_add_f32 v[12:13], v[0:1], v[44:45]
	v_pk_add_f32 v[22:23], v[44:45], v[6:7]
	v_pk_add_f32 v[44:45], v[44:45], v[6:7] neg_lo:[0,1] neg_hi:[0,1]
	v_pk_add_f32 v[6:7], v[12:13], v[6:7]
	v_pk_fma_f32 v[0:1], v[22:23], 0.5, v[0:1] op_sel_hi:[1,0,1] neg_lo:[1,0,0] neg_hi:[1,0,0]
	v_pk_mul_f32 v[12:13], v[44:45], s[8:9] op_sel_hi:[1,0]
	v_mov_b32_e32 v44, v39
	v_pk_add_f32 v[22:23], v[0:1], v[12:13] op_sel:[0,1] op_sel_hi:[1,0]
	v_pk_add_f32 v[0:1], v[0:1], v[12:13] op_sel:[0,1] op_sel_hi:[1,0] neg_lo:[0,1] neg_hi:[0,1]
	v_pk_mul_f32 v[12:13], v[18:19], v[36:37] op_sel:[0,1]
	v_pk_fma_f32 v[62:63], v[16:17], v[32:33], v[48:49] op_sel:[0,0,1] op_sel_hi:[1,1,0] neg_lo:[0,0,1] neg_hi:[0,0,1]
	v_pk_fma_f32 v[58:59], v[18:19], v[36:37], v[12:13] op_sel:[0,0,1] op_sel_hi:[1,1,0] neg_lo:[0,0,1] neg_hi:[0,0,1]
	v_pk_fma_f32 v[12:13], v[18:19], v[36:37], v[12:13] op_sel:[0,0,1] op_sel_hi:[1,0,0]
	s_waitcnt lgkmcnt(0)
	v_pk_mul_f32 v[18:19], v[20:21], v[44:45] op_sel_hi:[1,0]
	ds_read2_b64 v[44:47], v100 offset0:50 offset1:67
	v_pk_fma_f32 v[16:17], v[16:17], v[32:33], v[48:49] op_sel:[0,0,1] op_sel_hi:[1,0,0]
	ds_read2_b64 v[48:51], v192 offset0:170 offset1:187
	v_mov_b32_e32 v16, v35
	v_mov_b32_e32 v63, v17
	s_waitcnt lgkmcnt(1)
	v_pk_mul_f32 v[16:17], v[46:47], v[16:17] op_sel_hi:[1,0]
	v_mov_b32_e32 v59, v13
	v_pk_fma_f32 v[12:13], v[20:21], v[38:39], v[18:19] op_sel:[0,0,1] op_sel_hi:[1,1,0] neg_lo:[0,0,1] neg_hi:[0,0,1]
	v_pk_fma_f32 v[18:19], v[20:21], v[38:39], v[18:19] op_sel:[0,0,1] op_sel_hi:[1,0,0]
	v_pk_fma_f32 v[64:65], v[46:47], v[34:35], v[16:17] op_sel:[0,0,1] op_sel_hi:[1,1,0] neg_lo:[0,0,1] neg_hi:[0,0,1]
	v_pk_fma_f32 v[16:17], v[46:47], v[34:35], v[16:17] op_sel:[0,0,1] op_sel_hi:[1,0,0]
	s_waitcnt vmcnt(2) lgkmcnt(0)
	v_pk_mul_f32 v[46:47], v[50:51], v[28:29] op_sel:[0,1]
	v_mov_b32_e32 v13, v19
	v_pk_add_f32 v[18:19], v[4:5], v[58:59]
	v_pk_fma_f32 v[66:67], v[50:51], v[28:29], v[46:47] op_sel:[0,0,1] op_sel_hi:[1,1,0] neg_lo:[0,0,1] neg_hi:[0,0,1]
	v_pk_fma_f32 v[46:47], v[50:51], v[28:29], v[46:47] op_sel:[0,0,1] op_sel_hi:[1,0,0]
	v_pk_add_f32 v[60:61], v[18:19], v[12:13]
	ds_read2_b64 v[18:21], v192 offset0:68 offset1:85
	v_mov_b32_e32 v46, v31
	v_mov_b32_e32 v67, v47
	v_pk_mul_f32 v[46:47], v[44:45], v[46:47] op_sel_hi:[1,0]
	s_waitcnt vmcnt(1)
	v_pk_mul_f32 v[54:55], v[48:49], v[24:25] op_sel:[0,1]
	v_pk_fma_f32 v[68:69], v[44:45], v[30:31], v[46:47] op_sel:[0,0,1] op_sel_hi:[1,1,0] neg_lo:[0,0,1] neg_hi:[0,0,1]
	v_pk_fma_f32 v[44:45], v[44:45], v[30:31], v[46:47] op_sel:[0,0,1] op_sel_hi:[1,0,0]
	v_pk_fma_f32 v[74:75], v[48:49], v[24:25], v[54:55] op_sel:[0,0,1] op_sel_hi:[1,1,0] neg_lo:[0,0,1] neg_hi:[0,0,1]
	v_mov_b32_e32 v69, v45
	v_pk_add_f32 v[44:45], v[66:67], v[68:69]
	v_pk_add_f32 v[46:47], v[66:67], v[68:69] neg_lo:[0,1] neg_hi:[0,1]
	s_waitcnt lgkmcnt(0)
	v_pk_fma_f32 v[44:45], v[44:45], 0.5, v[18:19] op_sel_hi:[1,0,1] neg_lo:[1,0,0] neg_hi:[1,0,0]
	v_pk_mul_f32 v[46:47], v[46:47], s[8:9] op_sel_hi:[1,0]
	v_pk_fma_f32 v[48:49], v[48:49], v[24:25], v[54:55] op_sel:[0,0,1] op_sel_hi:[1,0,0]
	v_pk_add_f32 v[70:71], v[44:45], v[46:47] op_sel:[0,1] op_sel_hi:[1,0] neg_lo:[0,1] neg_hi:[0,1]
	v_pk_add_f32 v[72:73], v[44:45], v[46:47] op_sel:[0,1] op_sel_hi:[1,0]
	ds_read2_b64 v[44:47], v192 offset0:34 offset1:51
	ds_read2_b64 v[50:53], v100 offset0:16 offset1:33
	v_mov_b32_e32 v48, v27
	v_mov_b32_e32 v75, v49
	;; [unrolled: 1-line block ×3, first 2 shown]
	v_pk_add_f32 v[16:17], v[20:21], v[62:63]
	s_waitcnt lgkmcnt(0)
	v_pk_mul_f32 v[48:49], v[52:53], v[48:49] op_sel_hi:[1,0]
	v_pk_add_f32 v[16:17], v[16:17], v[64:65]
	v_pk_fma_f32 v[76:77], v[52:53], v[26:27], v[48:49] op_sel:[0,0,1] op_sel_hi:[1,1,0] neg_lo:[0,0,1] neg_hi:[0,0,1]
	v_pk_fma_f32 v[48:49], v[52:53], v[26:27], v[48:49] op_sel:[0,0,1] op_sel_hi:[1,0,0]
	ds_read2_b64 v[52:55], v192 offset0:136 offset1:153
	v_mov_b32_e32 v77, v49
	v_pk_add_f32 v[48:49], v[74:75], v[76:77]
	v_pk_add_f32 v[78:79], v[74:75], v[76:77] neg_lo:[0,1] neg_hi:[0,1]
	v_pk_fma_f32 v[48:49], v[48:49], 0.5, v[46:47] op_sel_hi:[1,0,1] neg_lo:[1,0,0] neg_hi:[1,0,0]
	v_pk_mul_f32 v[78:79], v[78:79], s[8:9] op_sel_hi:[1,0]
	s_waitcnt lgkmcnt(0)
	v_pk_add_f32 v[80:81], v[48:49], v[78:79] op_sel:[0,1] op_sel_hi:[1,0] neg_lo:[0,1] neg_hi:[0,1]
	v_pk_add_f32 v[48:49], v[48:49], v[78:79] op_sel:[0,1] op_sel_hi:[1,0]
	s_waitcnt vmcnt(0)
	v_pk_mul_f32 v[78:79], v[54:55], v[40:41] op_sel:[0,1]
	s_barrier
	v_pk_fma_f32 v[82:83], v[54:55], v[40:41], v[78:79] op_sel:[0,0,1] op_sel_hi:[1,1,0] neg_lo:[0,0,1] neg_hi:[0,0,1]
	v_pk_fma_f32 v[54:55], v[54:55], v[40:41], v[78:79] op_sel:[0,0,1] op_sel_hi:[1,0,0]
	s_nop 0
	v_mov_b32_e32 v54, v43
	v_mov_b32_e32 v83, v55
	v_pk_mul_f32 v[54:55], v[50:51], v[54:55] op_sel_hi:[1,0]
	s_nop 0
	v_pk_fma_f32 v[78:79], v[50:51], v[42:43], v[54:55] op_sel:[0,0,1] op_sel_hi:[1,1,0] neg_lo:[0,0,1] neg_hi:[0,0,1]
	v_pk_fma_f32 v[50:51], v[50:51], v[42:43], v[54:55] op_sel:[0,0,1] op_sel_hi:[1,0,0]
	s_nop 0
	v_mov_b32_e32 v79, v51
	v_pk_add_f32 v[50:51], v[82:83], v[78:79]
	v_pk_add_f32 v[54:55], v[82:83], v[78:79] neg_lo:[0,1] neg_hi:[0,1]
	v_pk_fma_f32 v[50:51], v[50:51], 0.5, v[44:45] op_sel_hi:[1,0,1] neg_lo:[1,0,0] neg_hi:[1,0,0]
	v_pk_mul_f32 v[54:55], v[54:55], s[8:9] op_sel_hi:[1,0]
	s_nop 0
	v_pk_add_f32 v[84:85], v[50:51], v[54:55] op_sel:[0,1] op_sel_hi:[1,0] neg_lo:[0,1] neg_hi:[0,1]
	v_pk_add_f32 v[50:51], v[50:51], v[54:55] op_sel:[0,1] op_sel_hi:[1,0]
	v_pk_mul_f32 v[54:55], v[52:53], v[8:9] op_sel:[0,1]
	s_nop 0
	v_pk_fma_f32 v[86:87], v[52:53], v[8:9], v[54:55] op_sel:[0,0,1] op_sel_hi:[1,1,0] neg_lo:[0,0,1] neg_hi:[0,0,1]
	v_pk_fma_f32 v[52:53], v[52:53], v[8:9], v[54:55] op_sel:[0,0,1] op_sel_hi:[1,0,0]
	s_nop 0
	v_mov_b32_e32 v87, v53
	v_pk_mul_f32 v[52:53], v[14:15], v[56:57] op_sel_hi:[1,0]
	s_nop 0
	v_pk_fma_f32 v[54:55], v[14:15], v[10:11], v[52:53] op_sel:[0,0,1] op_sel_hi:[1,1,0] neg_lo:[0,0,1] neg_hi:[0,0,1]
	v_pk_fma_f32 v[14:15], v[14:15], v[10:11], v[52:53] op_sel:[0,0,1] op_sel_hi:[1,0,0]
	s_nop 0
	v_mov_b32_e32 v55, v15
	v_pk_add_f32 v[14:15], v[86:87], v[54:55]
	v_pk_add_f32 v[52:53], v[86:87], v[54:55] neg_lo:[0,1] neg_hi:[0,1]
	v_pk_fma_f32 v[14:15], v[14:15], 0.5, v[2:3] op_sel_hi:[1,0,1] neg_lo:[1,0,0] neg_hi:[1,0,0]
	v_pk_mul_f32 v[52:53], v[52:53], s[8:9] op_sel_hi:[1,0]
	v_pk_add_f32 v[2:3], v[2:3], v[86:87]
	v_pk_add_f32 v[56:57], v[14:15], v[52:53] op_sel:[0,1] op_sel_hi:[1,0] neg_lo:[0,1] neg_hi:[0,1]
	v_pk_add_f32 v[14:15], v[14:15], v[52:53] op_sel:[0,1] op_sel_hi:[1,0]
	v_mov_b32_e32 v53, v1
	v_mov_b32_e32 v1, v23
	v_pk_add_f32 v[2:3], v[2:3], v[54:55]
	ds_write2_b64 v192, v[0:1], v[2:3] offset0:34 offset1:51
	v_mov_b32_e32 v0, v14
	v_mov_b32_e32 v1, v57
	;; [unrolled: 1-line block ×3, first 2 shown]
	ds_write2_b64 v192, v[0:1], v[56:57] offset0:68 offset1:85
	v_pk_add_f32 v[0:1], v[44:45], v[82:83]
	v_mov_b32_e32 v52, v22
	v_pk_add_f32 v[0:1], v[0:1], v[78:79]
	v_mov_b32_e32 v2, v50
	v_mov_b32_e32 v3, v85
	ds_write2_b64 v192, v[6:7], v[52:53] offset1:17
	ds_write2_b64 v92, v[0:1], v[2:3] offset0:102 offset1:119
	v_pk_add_f32 v[0:1], v[46:47], v[74:75]
	v_mov_b32_e32 v2, v48
	v_pk_add_f32 v[0:1], v[0:1], v[76:77]
	v_mov_b32_e32 v3, v81
	ds_write2_b64 v91, v[0:1], v[2:3] offset0:153 offset1:170
	v_pk_add_f32 v[0:1], v[18:19], v[66:67]
	v_mov_b32_e32 v2, v72
	v_pk_add_f32 v[0:1], v[0:1], v[68:69]
	v_mov_b32_e32 v3, v71
	ds_write2_b64 v90, v[0:1], v[2:3] offset0:204 offset1:221
	v_pk_add_f32 v[0:1], v[62:63], v[64:65]
	v_pk_add_f32 v[2:3], v[62:63], v[64:65] neg_lo:[0,1] neg_hi:[0,1]
	v_pk_fma_f32 v[0:1], v[0:1], 0.5, v[20:21] op_sel_hi:[1,0,1] neg_lo:[1,0,0] neg_hi:[1,0,0]
	v_pk_mul_f32 v[2:3], v[2:3], s[8:9] op_sel_hi:[1,0]
	v_mov_b32_e32 v85, v51
	v_pk_add_f32 v[6:7], v[0:1], v[2:3] op_sel:[0,1] op_sel_hi:[1,0]
	v_pk_add_f32 v[0:1], v[0:1], v[2:3] op_sel:[0,1] op_sel_hi:[1,0] neg_lo:[0,1] neg_hi:[0,1]
	v_mov_b32_e32 v2, v6
	v_mov_b32_e32 v3, v1
	v_add_u32_e32 v1, 0x400, v89
	ds_write2_b64 v1, v[16:17], v[2:3] offset0:127 offset1:144
	v_mov_b32_e32 v1, v7
	ds_write_b64 v89, v[0:1] offset:2312
	v_pk_add_f32 v[0:1], v[58:59], v[12:13]
	v_pk_add_f32 v[2:3], v[58:59], v[12:13] neg_lo:[0,1] neg_hi:[0,1]
	v_pk_fma_f32 v[0:1], v[0:1], 0.5, v[4:5] op_sel_hi:[1,0,1] neg_lo:[1,0,0] neg_hi:[1,0,0]
	v_pk_mul_f32 v[2:3], v[2:3], s[8:9] op_sel_hi:[1,0]
	v_mov_b32_e32 v81, v49
	v_pk_add_f32 v[4:5], v[0:1], v[2:3] op_sel:[0,1] op_sel_hi:[1,0]
	v_pk_add_f32 v[0:1], v[0:1], v[2:3] op_sel:[0,1] op_sel_hi:[1,0] neg_lo:[0,1] neg_hi:[0,1]
	v_mov_b32_e32 v2, v4
	v_mov_b32_e32 v3, v1
	v_add_u32_e32 v1, 0x800, v88
	ds_write2_b64 v1, v[60:61], v[2:3] offset0:50 offset1:67
	v_mov_b32_e32 v1, v5
	v_mov_b32_e32 v71, v73
	ds_write_b64 v88, v[0:1] offset:2720
	v_mad_u64_u32 v[0:1], s[0:1], v128, 48, s[0:1]
	ds_write_b64 v92, v[84:85] offset:1088
	ds_write_b64 v91, v[80:81] offset:1496
	;; [unrolled: 1-line block ×3, first 2 shown]
	s_waitcnt lgkmcnt(0)
	s_barrier
	global_load_dwordx4 v[130:133], v[0:1], off offset:272
	global_load_dwordx4 v[122:125], v[0:1], off offset:304
	;; [unrolled: 1-line block ×9, first 2 shown]
	ds_read2_b64 v[94:97], v192 offset0:34 offset1:51
	ds_read2_b64 v[82:85], v192 offset0:102 offset1:119
	;; [unrolled: 1-line block ×8, first 2 shown]
	s_mov_b32 s8, 0x3f3bfb3b
	s_mov_b32 s0, 0x3ee1c552
	s_waitcnt vmcnt(8) lgkmcnt(6)
	v_mul_f32_e32 v0, v83, v133
	v_fma_f32 v117, v82, v132, -v0
	s_waitcnt vmcnt(7) lgkmcnt(3)
	v_mul_f32_e32 v0, v109, v123
	v_fma_f32 v119, v108, v122, -v0
	s_waitcnt vmcnt(5)
	v_mul_f32_e32 v0, v85, v59
	v_fma_f32 v18, v84, v58, -v0
	s_waitcnt vmcnt(4) lgkmcnt(0)
	v_mul_f32_e32 v0, v75, v49
	s_waitcnt vmcnt(3)
	v_pk_mul_f32 v[2:3], v[80:81], v[64:65] op_sel:[0,1]
	v_fma_f32 v16, v74, v48, -v0
	ds_read2_b64 v[110:113], v192 offset0:68 offset1:85
	ds_read_b64 v[0:1], v192 offset:2720
	v_pk_fma_f32 v[12:13], v[80:81], v[64:65], v[2:3] op_sel:[0,0,1] op_sel_hi:[1,1,0] neg_lo:[0,0,1] neg_hi:[0,0,1]
	v_pk_fma_f32 v[2:3], v[80:81], v[64:65], v[2:3] op_sel:[0,0,1] op_sel_hi:[1,0,0]
	v_accvgpr_write_b32 a97, v67
	v_mov_b32_e32 v2, v67
	v_mov_b32_e32 v13, v3
	v_pk_mul_f32 v[2:3], v[106:107], v[2:3] op_sel_hi:[1,0]
	v_accvgpr_write_b32 a96, v66
	v_pk_fma_f32 v[14:15], v[106:107], v[66:67], v[2:3] op_sel:[0,0,1] op_sel_hi:[1,1,0] neg_lo:[0,0,1] neg_hi:[0,0,1]
	v_pk_fma_f32 v[2:3], v[106:107], v[66:67], v[2:3] op_sel:[0,0,1] op_sel_hi:[1,0,0]
	v_accvgpr_write_b32 a95, v65
	v_mov_b32_e32 v15, v3
	s_waitcnt vmcnt(2) lgkmcnt(1)
	v_pk_mul_f32 v[2:3], v[112:113], v[44:45] op_sel:[0,1]
	v_accvgpr_write_b32 a94, v64
	v_pk_fma_f32 v[64:65], v[112:113], v[44:45], v[2:3] op_sel:[0,0,1] op_sel_hi:[1,1,0] neg_lo:[0,0,1] neg_hi:[0,0,1]
	v_pk_fma_f32 v[2:3], v[112:113], v[44:45], v[2:3] op_sel:[0,0,1] op_sel_hi:[1,0,0]
	v_pk_add_f32 v[80:81], v[12:13], v[14:15]
	v_mov_b32_e32 v2, v47
	v_mov_b32_e32 v65, v3
	v_pk_mul_f32 v[2:3], v[102:103], v[2:3] op_sel_hi:[1,0]
	v_pk_add_f32 v[12:13], v[14:15], v[12:13] neg_lo:[0,1] neg_hi:[0,1]
	v_pk_fma_f32 v[66:67], v[102:103], v[46:47], v[2:3] op_sel:[0,0,1] op_sel_hi:[1,1,0] neg_lo:[0,0,1] neg_hi:[0,0,1]
	v_pk_fma_f32 v[2:3], v[102:103], v[46:47], v[2:3] op_sel:[0,0,1] op_sel_hi:[1,0,0]
	v_mov_b32_e32 v113, v81
	v_mov_b32_e32 v67, v3
	s_waitcnt vmcnt(1)
	v_pk_mul_f32 v[2:3], v[76:77], v[20:21] op_sel:[0,1]
	v_mul_f32_e32 v98, v96, v131
	v_pk_fma_f32 v[68:69], v[76:77], v[20:21], v[2:3] op_sel:[0,0,1] op_sel_hi:[1,1,0] neg_lo:[0,0,1] neg_hi:[0,0,1]
	v_pk_fma_f32 v[2:3], v[76:77], v[20:21], v[2:3] op_sel:[0,0,1] op_sel_hi:[1,0,0]
	v_fmac_f32_e32 v98, v97, v130
	v_mov_b32_e32 v2, v23
	v_mov_b32_e32 v69, v3
	s_waitcnt lgkmcnt(0)
	v_pk_mul_f32 v[2:3], v[0:1], v[2:3] op_sel_hi:[1,0]
	v_mul_f32_e32 v120, v70, v125
	v_pk_fma_f32 v[76:77], v[0:1], v[22:23], v[2:3] op_sel:[0,0,1] op_sel_hi:[1,1,0] neg_lo:[0,0,1] neg_hi:[0,0,1]
	v_pk_fma_f32 v[0:1], v[0:1], v[22:23], v[2:3] op_sel:[0,0,1] op_sel_hi:[1,0,0]
	v_fmac_f32_e32 v120, v71, v124
	v_mov_b32_e32 v77, v1
	v_pk_add_f32 v[0:1], v[64:65], v[76:77]
	v_pk_add_f32 v[2:3], v[64:65], v[76:77] neg_lo:[0,1] neg_hi:[0,1]
	v_pk_add_f32 v[64:65], v[66:67], v[68:69]
	v_pk_add_f32 v[76:77], v[66:67], v[68:69] neg_lo:[0,1] neg_hi:[0,1]
	;; [unrolled: 2-line block ×3, first 2 shown]
	v_mov_b32_e32 v112, v14
	v_mov_b32_e32 v14, v80
	v_pk_add_f32 v[66:67], v[0:1], v[80:81] neg_lo:[0,1] neg_hi:[0,1]
	v_pk_add_f32 v[0:1], v[12:13], v[76:77] op_sel:[1,1] op_sel_hi:[0,0]
	v_pk_add_f32 v[68:69], v[2:3], v[12:13] op_sel:[1,1] op_sel_hi:[0,0] neg_lo:[0,1] neg_hi:[0,1]
	v_pk_add_f32 v[14:15], v[112:113], v[14:15]
	v_pk_add_f32 v[64:65], v[80:81], v[64:65] neg_lo:[0,1] neg_hi:[0,1]
	v_pk_add_f32 v[12:13], v[12:13], v[76:77] op_sel:[1,1] op_sel_hi:[0,0] neg_lo:[0,1] neg_hi:[0,1]
	v_pk_add_f32 v[106:107], v[76:77], v[2:3] op_sel:[1,1] op_sel_hi:[0,0] neg_lo:[0,1] neg_hi:[0,1]
	v_pk_add_f32 v[112:113], v[0:1], v[2:3] op_sel:[0,1] op_sel_hi:[1,0]
	v_pk_add_f32 v[0:1], v[94:95], v[14:15]
	v_pk_mul_f32 v[94:95], v[66:67], s[16:17] op_sel_hi:[1,0]
	v_pk_mul_f32 v[114:115], v[68:69], s[18:19] op_sel_hi:[1,0]
	;; [unrolled: 1-line block ×4, first 2 shown]
	v_pk_fma_f32 v[14:15], v[14:15], s[14:15], v[0:1] op_sel_hi:[1,0,1] neg_lo:[1,0,0] neg_hi:[1,0,0]
	v_pk_fma_f32 v[66:67], v[102:103], s[8:9], v[94:95] op_sel_hi:[1,0,1] neg_lo:[1,0,1] neg_hi:[1,0,1]
	v_pk_fma_f32 v[64:65], v[64:65], s[20:21], v[94:95] op_sel_hi:[1,0,1]
	v_pk_fma_f32 v[76:77], v[102:103], s[8:9], v[76:77] op_sel_hi:[1,0,1] neg_lo:[0,0,1] neg_hi:[0,0,1]
	v_pk_fma_f32 v[12:13], v[12:13], s[22:23], v[114:115] op_sel_hi:[1,0,1]
	v_pk_fma_f32 v[80:81], v[106:107], s[10:11], v[80:81] op_sel_hi:[1,0,1] neg_lo:[0,0,1] neg_hi:[0,0,1]
	v_pk_add_f32 v[66:67], v[66:67], v[14:15]
	v_pk_add_f32 v[94:95], v[64:65], v[14:15]
	v_pk_fma_f32 v[102:103], v[112:113], s[0:1], v[12:13] op_sel_hi:[1,0,1]
	v_pk_add_f32 v[12:13], v[76:77], v[14:15]
	v_pk_fma_f32 v[14:15], v[112:113], s[0:1], v[80:81] op_sel_hi:[1,0,1]
	v_mov_b32_e32 v80, v96
	v_pk_add_f32 v[76:77], v[12:13], v[14:15] neg_lo:[0,1] neg_hi:[0,1]
	v_pk_add_f32 v[64:65], v[12:13], v[14:15]
	v_pk_add_f32 v[12:13], v[94:95], v[102:103] neg_lo:[0,1] neg_hi:[0,1]
	v_pk_add_f32 v[14:15], v[94:95], v[102:103]
	v_mov_b32_e32 v96, v97
	v_mov_b32_e32 v97, v104
	v_mov_b32_e32 v102, v131
	s_waitcnt vmcnt(0)
	v_mov_b32_e32 v103, v61
	v_mov_b32_e32 v81, v105
	;; [unrolled: 1-line block ×4, first 2 shown]
	v_pk_mul_f32 v[96:97], v[96:97], v[102:103]
	v_pk_mul_f32 v[2:3], v[106:107], s[10:11] op_sel_hi:[1,0]
	v_pk_fma_f32 v[102:103], v[80:81], v[94:95], v[96:97] neg_lo:[0,0,1] neg_hi:[0,0,1]
	v_pk_fma_f32 v[80:81], v[80:81], v[94:95], v[96:97]
	v_mov_b32_e32 v95, v83
	v_mov_b32_e32 v106, v105
	;; [unrolled: 1-line block ×8, first 2 shown]
	v_pk_mul_f32 v[82:83], v[106:107], v[82:83]
	v_mov_b32_e32 v106, v87
	v_pk_fma_f32 v[104:105], v[104:105], v[60:61], v[82:83] neg_lo:[0,0,1] neg_hi:[0,0,1]
	v_pk_fma_f32 v[82:83], v[94:95], v[96:97], v[82:83]
	v_mov_b32_e32 v95, v109
	v_mov_b32_e32 v107, v108
	;; [unrolled: 1-line block ×7, first 2 shown]
	v_pk_mul_f32 v[106:107], v[106:107], v[108:109]
	v_pk_fma_f32 v[2:3], v[68:69], s[18:19], v[2:3] op_sel_hi:[1,0,1] neg_lo:[1,0,1] neg_hi:[1,0,1]
	v_pk_fma_f32 v[108:109], v[86:87], v[62:63], v[106:107] neg_lo:[0,0,1] neg_hi:[0,0,1]
	v_pk_fma_f32 v[94:95], v[94:95], v[96:97], v[106:107]
	v_mov_b32_e32 v96, v70
	v_mov_b32_e32 v97, v87
	;; [unrolled: 1-line block ×8, first 2 shown]
	v_pk_mul_f32 v[70:71], v[70:71], v[86:87]
	v_pk_fma_f32 v[68:69], v[112:113], s[0:1], v[2:3] op_sel_hi:[1,0,1]
	ds_read2_b64 v[112:115], v192 offset1:17
	v_pk_fma_f32 v[86:87], v[96:97], v[106:107], v[70:71] neg_lo:[0,0,1] neg_hi:[0,0,1]
	v_pk_fma_f32 v[70:71], v[96:97], v[106:107], v[70:71]
	v_mov_b32_e32 v103, v81
	v_mov_b32_e32 v105, v83
	;; [unrolled: 1-line block ×12, first 2 shown]
	v_add_f32_e32 v7, v98, v120
	v_add_f32_e32 v4, v117, v119
	v_pk_add_f32 v[96:97], v[98:99], v[120:121] neg_lo:[0,1] neg_hi:[0,1]
	v_pk_add_f32 v[82:83], v[116:117], v[118:119] neg_lo:[0,1] neg_hi:[0,1]
	v_pk_add_f32 v[94:95], v[104:105], v[108:109]
	v_pk_add_f32 v[86:87], v[102:103], v[86:87]
	v_pk_add_f32 v[70:71], v[70:71], v[80:81] neg_lo:[0,1] neg_hi:[0,1]
	v_add_f32_e32 v80, v4, v86
	v_add_f32_e32 v99, v95, v7
	v_mov_b32_e32 v6, v94
	v_mov_b32_e32 v5, v87
	;; [unrolled: 1-line block ×8, first 2 shown]
	v_pk_add_f32 v[102:103], v[6:7], v[4:5] neg_lo:[0,1] neg_hi:[0,1]
	v_pk_add_f32 v[106:107], v[70:71], v[82:83]
	v_pk_add_f32 v[108:109], v[108:109], v[116:117] neg_lo:[0,1] neg_hi:[0,1]
	v_mov_b32_e32 v116, v96
	v_mov_b32_e32 v71, v83
	v_pk_add_f32 v[80:81], v[80:81], v[98:99]
	s_mov_b32 s21, s16
	s_mov_b32 s23, s18
	v_pk_add_f32 v[104:105], v[86:87], v[94:95] neg_lo:[0,1] neg_hi:[0,1]
	v_pk_add_f32 v[70:71], v[116:117], v[70:71] neg_lo:[0,1] neg_hi:[0,1]
	v_pk_add_f32 v[98:99], v[106:107], v[96:97]
	s_waitcnt lgkmcnt(0)
	v_pk_add_f32 v[106:107], v[112:113], v[80:81]
	v_pk_mul_f32 v[102:103], v[102:103], s[20:21]
	s_mov_b32 s17, s20
	s_mov_b32 s19, s22
	v_pk_mul_f32 v[108:109], v[108:109], s[22:23]
	v_pk_mul_f32 v[112:113], v[104:105], s[16:17]
	;; [unrolled: 1-line block ×3, first 2 shown]
	v_pk_fma_f32 v[80:81], v[80:81], s[14:15], v[106:107] op_sel_hi:[1,0,1] neg_lo:[1,0,0] neg_hi:[1,0,0]
	v_pk_fma_f32 v[104:105], v[104:105], s[16:17], v[102:103]
	v_pk_fma_f32 v[70:71], v[70:71], s[18:19], v[108:109]
	v_pk_add_f32 v[104:105], v[104:105], v[80:81]
	v_pk_fma_f32 v[70:71], v[98:99], s[0:1], v[70:71] op_sel_hi:[1,0,1]
	v_mul_f32_e32 v91, v89, v54
	v_pk_add_f32 v[118:119], v[104:105], v[70:71]
	v_pk_add_f32 v[70:71], v[104:105], v[70:71] neg_lo:[0,1] neg_hi:[0,1]
	v_pk_mul_f32 v[104:105], v[110:111], v[56:57] op_sel_hi:[1,0]
	v_mul_f32_e32 v93, v88, v55
	v_accvgpr_write_b32 a86, v122
	v_pk_fma_f32 v[120:121], v[110:111], v[56:57], v[104:105] op_sel:[0,1,1] op_sel_hi:[1,1,0]
	v_pk_fma_f32 v[104:105], v[110:111], v[56:57], v[104:105] op_sel:[0,1,1] op_sel_hi:[1,1,0] neg_lo:[1,0,0] neg_hi:[1,0,0]
	v_mov_b32_e32 v110, v85
	v_mov_b32_e32 v111, v88
	;; [unrolled: 1-line block ×5, first 2 shown]
	v_accvgpr_write_b32 a87, v123
	v_accvgpr_write_b32 a88, v124
	;; [unrolled: 1-line block ×3, first 2 shown]
	v_mov_b32_e32 v122, v58
	v_mov_b32_e32 v123, v54
	v_pk_mul_f32 v[84:85], v[84:85], v[88:89]
	v_mul_f32_e32 v19, v79, v52
	v_mul_f32_e32 v17, v78, v53
	v_pk_fma_f32 v[88:89], v[110:111], v[58:59], v[84:85]
	v_pk_fma_f32 v[84:85], v[110:111], v[122:123], v[84:85] neg_lo:[0,0,1] neg_hi:[0,0,1]
	v_mov_b32_e32 v110, v75
	v_mov_b32_e32 v111, v78
	;; [unrolled: 1-line block ×5, first 2 shown]
	v_pk_add_f32 v[2:3], v[66:67], v[68:69] neg_lo:[0,1] neg_hi:[0,1]
	v_mov_b32_e32 v122, v48
	v_mov_b32_e32 v123, v52
	v_pk_mul_f32 v[74:75], v[74:75], v[78:79]
	v_pk_add_f32 v[68:69], v[66:67], v[68:69]
	v_mov_b32_e32 v66, v2
	v_pk_fma_f32 v[78:79], v[110:111], v[48:49], v[74:75]
	v_pk_fma_f32 v[74:75], v[110:111], v[122:123], v[74:75] neg_lo:[0,0,1] neg_hi:[0,0,1]
	v_pk_mul_f32 v[110:111], v[72:73], v[50:51] op_sel_hi:[1,0]
	v_mov_b32_e32 v2, v51
	v_pk_fma_f32 v[122:123], v[72:73], v[2:3], v[110:111] op_sel:[0,0,1] op_sel_hi:[1,0,0]
	v_pk_fma_f32 v[72:73], v[72:73], v[2:3], v[110:111] op_sel:[0,0,1] op_sel_hi:[1,0,0] neg_lo:[1,0,0] neg_hi:[1,0,0]
	v_mov_b32_e32 v121, v105
	v_mov_b32_e32 v89, v85
	;; [unrolled: 1-line block ×9, first 2 shown]
	v_pk_add_f32 v[76:77], v[18:19], v[16:17]
	v_pk_add_f32 v[110:111], v[120:121], v[122:123]
	v_pk_add_f32 v[120:121], v[120:121], v[122:123] neg_lo:[0,1] neg_hi:[0,1]
	v_pk_add_f32 v[122:123], v[88:89], v[78:79]
	v_pk_add_f32 v[72:73], v[90:91], v[92:93]
	v_pk_add_f32 v[78:79], v[88:89], v[78:79] neg_lo:[0,1] neg_hi:[0,1]
	v_mov_b32_e32 v88, v73
	v_mov_b32_e32 v89, v18
	;; [unrolled: 1-line block ×8, first 2 shown]
	v_pk_add_f32 v[16:17], v[88:89], v[18:19] neg_lo:[0,1] neg_hi:[0,1]
	v_pk_add_f32 v[104:105], v[76:77], v[72:73]
	v_pk_add_f32 v[74:75], v[74:75], v[84:85]
	v_mov_b32_e32 v90, v16
	v_mov_b32_e32 v91, v121
	;; [unrolled: 1-line block ×8, first 2 shown]
	v_pk_add_f32 v[90:91], v[90:91], v[78:79] neg_lo:[0,1] neg_hi:[0,1]
	v_pk_add_f32 v[84:85], v[84:85], v[76:77] neg_lo:[0,1] neg_hi:[0,1]
	v_mov_b32_e32 v73, v105
	v_mov_b32_e32 v124, v74
	;; [unrolled: 1-line block ×3, first 2 shown]
	v_pk_add_f32 v[74:75], v[104:105], v[74:75]
	v_pk_add_f32 v[4:5], v[4:5], v[86:87] neg_lo:[0,1] neg_hi:[0,1]
	v_pk_add_f32 v[6:7], v[82:83], v[96:97] neg_lo:[0,1] neg_hi:[0,1]
	v_mov_b32_e32 v82, v112
	v_mov_b32_e32 v83, v103
	;; [unrolled: 1-line block ×6, first 2 shown]
	v_pk_add_f32 v[18:19], v[18:19], v[16:17] neg_lo:[0,1] neg_hi:[0,1]
	v_pk_mul_f32 v[90:91], v[90:91], s[22:23]
	v_pk_add_f32 v[92:93], v[78:79], v[16:17]
	v_pk_add_f32 v[124:125], v[72:73], v[124:125] neg_lo:[0,1] neg_hi:[0,1]
	v_pk_add_f32 v[104:105], v[114:115], v[74:75]
	v_pk_mul_f32 v[84:85], v[84:85], s[20:21]
	v_pk_fma_f32 v[82:83], v[4:5], s[8:9], v[82:83] op_sel_hi:[1,0,1] neg_lo:[1,0,1] neg_hi:[1,0,1]
	v_pk_fma_f32 v[86:87], v[6:7], s[10:11], v[86:87] op_sel_hi:[1,0,1] neg_lo:[1,0,1] neg_hi:[1,0,1]
	v_pk_fma_f32 v[4:5], v[4:5], s[8:9], v[102:103] op_sel_hi:[1,0,1] neg_lo:[0,0,1] neg_hi:[0,0,1]
	v_pk_fma_f32 v[6:7], v[6:7], s[10:11], v[108:109] op_sel_hi:[1,0,1] neg_lo:[0,0,1] neg_hi:[0,0,1]
	v_pk_mul_f32 v[88:89], v[18:19], s[18:19]
	v_pk_add_f32 v[92:93], v[92:93], v[120:121]
	v_pk_mul_f32 v[114:115], v[124:125], s[16:17]
	v_pk_fma_f32 v[74:75], v[74:75], s[14:15], v[104:105] op_sel_hi:[1,0,1] neg_lo:[1,0,0] neg_hi:[1,0,0]
	v_pk_fma_f32 v[124:125], v[124:125], s[16:17], v[84:85]
	v_pk_fma_f32 v[18:19], v[18:19], s[18:19], v[90:91]
	v_pk_add_f32 v[82:83], v[82:83], v[80:81]
	v_pk_fma_f32 v[86:87], v[98:99], s[0:1], v[86:87] op_sel_hi:[1,0,1]
	v_pk_add_f32 v[4:5], v[4:5], v[80:81]
	v_pk_fma_f32 v[6:7], v[98:99], s[0:1], v[6:7] op_sel_hi:[1,0,1]
	;; [unrolled: 2-line block ×3, first 2 shown]
	v_pk_add_f32 v[94:95], v[82:83], v[86:87]
	v_pk_add_f32 v[82:83], v[82:83], v[86:87] neg_lo:[0,1] neg_hi:[0,1]
	v_pk_add_f32 v[80:81], v[4:5], v[6:7] neg_lo:[0,1] neg_hi:[0,1]
	v_pk_add_f32 v[4:5], v[4:5], v[6:7]
	v_pk_add_f32 v[126:127], v[124:125], v[18:19]
	v_pk_add_f32 v[18:19], v[124:125], v[18:19] neg_lo:[0,1] neg_hi:[0,1]
	v_mov_b32_e32 v124, v118
	v_mov_b32_e32 v125, v71
	;; [unrolled: 1-line block ×9, first 2 shown]
	v_add_u32_e32 v2, 0x400, v192
	v_mov_b32_e32 v79, v17
	v_mov_b32_e32 v77, v122
	v_mov_b32_e32 v73, v110
	ds_write2_b64 v192, v[124:125], v[86:87] offset0:51 offset1:102
	ds_write2_b64 v192, v[6:7], v[4:5] offset0:153 offset1:204
	;; [unrolled: 1-line block ×3, first 2 shown]
	ds_write2_b64 v192, v[106:107], v[104:105] offset1:17
	v_pk_add_f32 v[6:7], v[78:79], v[120:121] neg_lo:[0,1] neg_hi:[0,1]
	v_pk_add_f32 v[16:17], v[76:77], v[72:73] neg_lo:[0,1] neg_hi:[0,1]
	v_mov_b32_e32 v70, v114
	v_mov_b32_e32 v71, v85
	;; [unrolled: 1-line block ×4, first 2 shown]
	v_pk_fma_f32 v[70:71], v[16:17], s[8:9], v[70:71] op_sel_hi:[1,0,1] neg_lo:[1,0,1] neg_hi:[1,0,1]
	v_pk_fma_f32 v[72:73], v[6:7], s[10:11], v[72:73] op_sel_hi:[1,0,1] neg_lo:[1,0,1] neg_hi:[1,0,1]
	v_mov_b32_e32 v85, v115
	v_mov_b32_e32 v91, v89
	v_pk_add_f32 v[70:71], v[70:71], v[74:75]
	v_pk_fma_f32 v[72:73], v[92:93], s[0:1], v[72:73] op_sel_hi:[1,0,1]
	v_pk_fma_f32 v[16:17], v[16:17], s[8:9], v[84:85] op_sel_hi:[1,0,1] neg_lo:[0,0,1] neg_hi:[0,0,1]
	v_pk_fma_f32 v[6:7], v[6:7], s[10:11], v[90:91] op_sel_hi:[1,0,1] neg_lo:[0,0,1] neg_hi:[0,0,1]
	v_accvgpr_write_b32 a69, v23
	v_pk_add_f32 v[76:77], v[70:71], v[72:73]
	v_pk_add_f32 v[70:71], v[70:71], v[72:73] neg_lo:[0,1] neg_hi:[0,1]
	v_pk_add_f32 v[16:17], v[16:17], v[74:75]
	v_pk_fma_f32 v[6:7], v[92:93], s[0:1], v[6:7] op_sel_hi:[1,0,1]
	v_accvgpr_write_b32 a68, v22
	v_accvgpr_write_b32 a67, v21
	;; [unrolled: 1-line block ×3, first 2 shown]
	v_mov_b32_e32 v67, v69
	v_mov_b32_e32 v20, v12
	;; [unrolled: 1-line block ×7, first 2 shown]
	v_pk_add_f32 v[74:75], v[16:17], v[6:7] neg_lo:[0,1] neg_hi:[0,1]
	v_pk_add_f32 v[6:7], v[16:17], v[6:7]
	v_mov_b32_e32 v71, v77
	v_mov_b32_e32 v19, v127
	ds_write_b64 v192, v[0:1] offset:272
	v_mov_b32_e32 v15, v13
	v_mov_b32_e32 v69, v3
	v_add_u32_e32 v0, 0x800, v193
	v_mov_b32_e32 v16, v74
	v_mov_b32_e32 v17, v7
	;; [unrolled: 1-line block ×3, first 2 shown]
	ds_write2_b64 v193, v[4:5], v[14:15] offset0:68 offset1:85
	ds_write2_b64 v193, v[72:73], v[68:69] offset0:119 offset1:136
	;; [unrolled: 1-line block ×6, first 2 shown]
	v_accvgpr_read_b32 v0, a2
	v_accvgpr_read_b32 v1, a3
	s_waitcnt lgkmcnt(0)
	s_barrier
	global_load_dwordx2 v[12:13], v[0:1], off offset:2856
	s_add_u32 s8, s12, 0xb28
	s_addc_u32 s9, s13, 0
	v_lshlrev_b32_e32 v0, 3, v128
	global_load_dwordx2 v[16:17], v0, s[8:9] offset:168
	global_load_dwordx2 v[18:19], v0, s[8:9] offset:336
	;; [unrolled: 1-line block ×16, first 2 shown]
	ds_read2_b64 v[4:7], v192 offset1:21
	v_accvgpr_write_b32 a73, v47
	v_accvgpr_write_b32 a90, v130
	;; [unrolled: 1-line block ×18, first 2 shown]
	s_waitcnt vmcnt(16) lgkmcnt(0)
	v_mul_f32_e32 v1, v5, v13
	v_mul_f32_e32 v97, v4, v13
	v_fma_f32 v96, v4, v12, -v1
	v_fmac_f32_e32 v97, v5, v12
	ds_read2_b64 v[12:15], v192 offset0:42 offset1:63
	s_waitcnt vmcnt(15)
	v_mul_f32_e32 v1, v7, v17
	v_mul_f32_e32 v5, v6, v17
	v_fma_f32 v4, v6, v16, -v1
	v_fmac_f32_e32 v5, v7, v16
	ds_write2_b64 v192, v[96:97], v[4:5] offset1:21
	ds_read2_b64 v[4:7], v192 offset0:84 offset1:105
	s_waitcnt vmcnt(14) lgkmcnt(2)
	v_mul_f32_e32 v1, v13, v19
	v_mul_f32_e32 v17, v12, v19
	v_fma_f32 v16, v12, v18, -v1
	v_fmac_f32_e32 v17, v13, v18
	s_waitcnt vmcnt(13)
	v_mul_f32_e32 v1, v15, v69
	v_mul_f32_e32 v13, v14, v69
	v_fma_f32 v12, v14, v68, -v1
	v_fmac_f32_e32 v13, v15, v68
	ds_write2_b64 v192, v[16:17], v[12:13] offset0:42 offset1:63
	ds_read2_b64 v[12:15], v192 offset0:126 offset1:147
	s_waitcnt vmcnt(12) lgkmcnt(2)
	v_mul_f32_e32 v1, v5, v71
	v_mul_f32_e32 v17, v4, v71
	v_fma_f32 v16, v4, v70, -v1
	v_fmac_f32_e32 v17, v5, v70
	s_waitcnt vmcnt(11)
	v_mul_f32_e32 v1, v7, v73
	v_mul_f32_e32 v5, v6, v73
	v_fma_f32 v4, v6, v72, -v1
	v_fmac_f32_e32 v5, v7, v72
	ds_write2_b64 v192, v[16:17], v[4:5] offset0:84 offset1:105
	;; [unrolled: 12-line block ×5, first 2 shown]
	ds_read2_b64 v[12:15], v100 offset0:38 offset1:59
	s_waitcnt vmcnt(4) lgkmcnt(2)
	v_mul_f32_e32 v1, v5, v87
	v_mul_f32_e32 v17, v4, v87
	v_fma_f32 v16, v4, v86, -v1
	v_fmac_f32_e32 v17, v5, v86
	s_waitcnt vmcnt(3)
	v_mul_f32_e32 v1, v7, v89
	v_mul_f32_e32 v5, v6, v89
	v_fma_f32 v4, v6, v88, -v1
	v_fmac_f32_e32 v5, v7, v88
	ds_read_b64 v[6:7], v192 offset:2688
	ds_write2_b64 v2, v[16:17], v[4:5] offset0:124 offset1:145
	s_waitcnt vmcnt(2) lgkmcnt(2)
	v_mul_f32_e32 v1, v13, v91
	v_mul_f32_e32 v5, v12, v91
	v_fma_f32 v4, v12, v90, -v1
	v_fmac_f32_e32 v5, v13, v90
	s_waitcnt vmcnt(1)
	v_mul_f32_e32 v1, v15, v93
	v_mul_f32_e32 v13, v14, v93
	v_fma_f32 v12, v14, v92, -v1
	v_fmac_f32_e32 v13, v15, v92
	ds_write2_b64 v100, v[4:5], v[12:13] offset0:38 offset1:59
	s_waitcnt vmcnt(0) lgkmcnt(2)
	v_mul_f32_e32 v1, v7, v95
	v_mul_f32_e32 v5, v6, v95
	v_fma_f32 v4, v6, v94, -v1
	v_fmac_f32_e32 v5, v7, v94
	ds_write_b64 v192, v[4:5] offset:2688
	s_and_saveexec_b64 s[0:1], vcc
	s_cbranch_execz .LBB0_9
; %bb.8:
	v_mov_b32_e32 v1, 0
	v_lshl_add_u64 v[0:1], s[8:9], 0, v[0:1]
	global_load_dwordx2 v[84:85], v[0:1], off offset:136
	global_load_dwordx2 v[86:87], v[0:1], off offset:304
	;; [unrolled: 1-line block ×16, first 2 shown]
	ds_read2_b64 v[4:7], v192 offset0:17 offset1:38
	ds_read2_b64 v[12:15], v192 offset0:59 offset1:80
	global_load_dwordx2 v[0:1], v[0:1], off offset:2824
	ds_read2_b64 v[16:19], v192 offset0:101 offset1:122
	ds_read2_b64 v[68:71], v192 offset0:143 offset1:164
	;; [unrolled: 1-line block ×5, first 2 shown]
	s_waitcnt vmcnt(16) lgkmcnt(6)
	v_mul_f32_e32 v3, v5, v85
	v_mul_f32_e32 v119, v4, v85
	s_waitcnt vmcnt(15)
	v_mul_f32_e32 v20, v7, v87
	v_mul_f32_e32 v85, v6, v87
	s_waitcnt vmcnt(14) lgkmcnt(5)
	v_mul_f32_e32 v21, v13, v89
	v_mul_f32_e32 v87, v12, v89
	s_waitcnt vmcnt(13)
	v_mul_f32_e32 v22, v15, v91
	v_mul_f32_e32 v89, v14, v91
	;; [unrolled: 6-line block ×6, first 2 shown]
	v_fma_f32 v118, v4, v84, -v3
	v_fmac_f32_e32 v119, v5, v84
	v_fma_f32 v84, v6, v86, -v20
	v_fmac_f32_e32 v85, v7, v86
	;; [unrolled: 2-line block ×12, first 2 shown]
	ds_write2_b64 v192, v[118:119], v[84:85] offset0:17 offset1:38
	ds_write2_b64 v192, v[86:87], v[88:89] offset0:59 offset1:80
	ds_write2_b64 v192, v[90:91], v[92:93] offset0:101 offset1:122
	ds_write2_b64 v192, v[94:95], v[96:97] offset0:143 offset1:164
	ds_write2_b64 v192, v[98:99], v[102:103] offset0:185 offset1:206
	ds_write2_b64 v192, v[104:105], v[106:107] offset0:227 offset1:248
	ds_read2_b64 v[4:7], v100 offset0:55 offset1:76
	s_waitcnt vmcnt(4) lgkmcnt(7)
	v_mul_f32_e32 v51, v81, v111
	v_mul_f32_e32 v109, v80, v111
	s_waitcnt vmcnt(3)
	v_mul_f32_e32 v56, v83, v113
	v_mul_f32_e32 v13, v82, v113
	v_fma_f32 v108, v80, v110, -v51
	v_fmac_f32_e32 v109, v81, v110
	v_fma_f32 v12, v82, v112, -v56
	v_fmac_f32_e32 v13, v83, v112
	ds_write2_b64 v100, v[108:109], v[12:13] offset0:13 offset1:34
	s_waitcnt vmcnt(2) lgkmcnt(1)
	v_mul_f32_e32 v3, v5, v115
	v_mul_f32_e32 v13, v4, v115
	v_fma_f32 v12, v4, v114, -v3
	v_fmac_f32_e32 v13, v5, v114
	ds_read_b64 v[4:5], v192 offset:2824
	s_waitcnt vmcnt(1)
	v_mul_f32_e32 v3, v7, v117
	v_mul_f32_e32 v15, v6, v117
	v_fma_f32 v14, v6, v116, -v3
	v_fmac_f32_e32 v15, v7, v116
	s_waitcnt vmcnt(0) lgkmcnt(0)
	v_mul_f32_e32 v3, v5, v1
	v_mul_f32_e32 v7, v4, v1
	v_fma_f32 v6, v4, v0, -v3
	v_fmac_f32_e32 v7, v5, v0
	ds_write2_b64 v100, v[12:13], v[14:15] offset0:55 offset1:76
	ds_write_b64 v192, v[6:7] offset:2824
.LBB0_9:
	s_or_b64 exec, exec, s[0:1]
	s_waitcnt lgkmcnt(0)
	s_barrier
	ds_read2_b64 v[72:75], v192 offset1:21
	ds_read2_b64 v[96:99], v192 offset0:42 offset1:63
	ds_read2_b64 v[88:91], v192 offset0:84 offset1:105
	ds_read2_b64 v[80:83], v192 offset0:126 offset1:147
	ds_read2_b64 v[76:79], v192 offset0:168 offset1:189
	ds_read2_b64 v[84:87], v192 offset0:210 offset1:231
	ds_read2_b64 v[92:95], v2 offset0:124 offset1:145
	ds_read2_b64 v[100:103], v100 offset0:38 offset1:59
	ds_read_b64 v[2:3], v192 offset:2688
	s_and_saveexec_b64 s[0:1], vcc
	s_cbranch_execz .LBB0_11
; %bb.10:
	v_accvgpr_read_b32 v0, a0
	v_accvgpr_read_b32 v1, a1
	v_lshl_add_u32 v0, v0, 3, v1
	v_add_u32_e32 v1, 0x800, v0
	ds_read2_b64 v[64:67], v0 offset0:38 offset1:59
	ds_read_b64 v[144:145], v192 offset:136
	ds_read2_b64 a[98:101], v0 offset0:80 offset1:101
	ds_read2_b64 v[4:7], v0 offset0:122 offset1:143
	;; [unrolled: 1-line block ×5, first 2 shown]
	v_add_u32_e32 v1, 0x400, v0
	ds_read2_b64 v[68:71], v1 offset0:120 offset1:141
	ds_read2_b64 v[104:107], v0 offset0:206 offset1:227
	s_waitcnt lgkmcnt(5)
	v_accvgpr_write_b32 a57, v7
	s_waitcnt lgkmcnt(3)
	v_accvgpr_write_b32 a41, v23
	v_accvgpr_write_b32 a43, v21
	s_waitcnt lgkmcnt(2)
	v_accvgpr_write_b32 a45, v19
	;; [unrolled: 3-line block ×4, first 2 shown]
	v_accvgpr_write_b32 a64, v104
	v_accvgpr_write_b32 a63, v15
	;; [unrolled: 1-line block ×4, first 2 shown]
	v_accvgpr_mov_b32 a54, a100
	v_accvgpr_write_b32 a40, v22
	v_accvgpr_write_b32 a42, v20
	;; [unrolled: 1-line block ×12, first 2 shown]
	v_accvgpr_mov_b32 a55, a101
.LBB0_11:
	s_or_b64 exec, exec, s[0:1]
	s_waitcnt lgkmcnt(8)
	v_pk_add_f32 v[0:1], v[72:73], v[74:75]
	s_waitcnt lgkmcnt(0)
	v_pk_add_f32 v[70:71], v[74:75], v[2:3] neg_lo:[0,1] neg_hi:[0,1]
	v_pk_add_f32 v[0:1], v[0:1], v[96:97]
	s_mov_b32 s20, 0xbeb8f4ab
	v_pk_add_f32 v[0:1], v[0:1], v[98:99]
	s_mov_b32 s12, 0x3f6eb680
	v_pk_add_f32 v[0:1], v[0:1], v[88:89]
	v_pk_add_f32 v[114:115], v[96:97], v[102:103] neg_lo:[0,1] neg_hi:[0,1]
	v_pk_add_f32 v[0:1], v[0:1], v[90:91]
	s_mov_b32 s36, 0xbf2c7751
	v_pk_add_f32 v[0:1], v[0:1], v[80:81]
	s_mov_b32 s0, 0x3f3d2fb0
	v_pk_add_f32 v[0:1], v[0:1], v[82:83]
	v_pk_add_f32 v[118:119], v[98:99], v[100:101] neg_lo:[0,1] neg_hi:[0,1]
	v_pk_add_f32 v[0:1], v[0:1], v[76:77]
	s_mov_b32 s44, 0xbf65296c
	v_pk_add_f32 v[0:1], v[0:1], v[78:79]
	v_pk_add_f32 v[116:117], v[100:101], v[98:99]
	;; [unrolled: 1-line block ×3, first 2 shown]
	s_mov_b32 s8, 0x3ee437d1
	v_pk_add_f32 v[0:1], v[0:1], v[86:87]
	v_pk_add_f32 v[120:121], v[94:95], v[88:89]
	;; [unrolled: 1-line block ×3, first 2 shown]
	v_pk_add_f32 v[88:89], v[88:89], v[94:95] neg_lo:[0,1] neg_hi:[0,1]
	v_pk_add_f32 v[0:1], v[0:1], v[94:95]
	s_mov_b32 s28, 0xbf7ee86f
	v_pk_add_f32 v[0:1], v[0:1], v[100:101]
	s_mov_b32 s10, 0x3dbcf732
	v_pk_add_f32 v[0:1], v[0:1], v[102:103]
	v_pk_add_f32 v[130:131], v[92:93], v[90:91]
	v_pk_add_f32 v[4:5], v[0:1], v[2:3]
	v_pk_add_f32 v[0:1], v[2:3], v[74:75]
	v_pk_mul_f32 v[2:3], v[70:71], s[20:21] op_sel_hi:[1,0]
	v_pk_add_f32 v[74:75], v[102:103], v[96:97]
	v_pk_fma_f32 v[6:7], v[0:1], s[12:13], v[2:3] op_sel:[0,0,1] op_sel_hi:[1,0,0]
	v_pk_fma_f32 v[146:147], v[0:1], s[12:13], v[2:3] op_sel:[0,0,1] op_sel_hi:[1,0,0] neg_lo:[0,0,1] neg_hi:[0,0,1]
	v_mov_b32_e32 v2, v6
	v_accvgpr_write_b32 a101, v7
	v_pk_mul_f32 v[6:7], v[114:115], s[36:37] op_sel_hi:[1,0]
	v_mov_b32_e32 v3, v147
	v_pk_fma_f32 v[12:13], v[74:75], s[0:1], v[6:7] op_sel:[0,0,1] op_sel_hi:[1,0,0]
	v_pk_fma_f32 v[102:103], v[74:75], s[0:1], v[6:7] op_sel:[0,0,1] op_sel_hi:[1,0,0] neg_lo:[0,0,1] neg_hi:[0,0,1]
	v_pk_add_f32 v[2:3], v[72:73], v[2:3]
	v_mov_b32_e32 v6, v12
	v_mov_b32_e32 v7, v103
	v_pk_add_f32 v[2:3], v[6:7], v[2:3]
	v_pk_mul_f32 v[6:7], v[118:119], s[44:45] op_sel_hi:[1,0]
	v_accvgpr_write_b32 a103, v13
	v_pk_fma_f32 v[12:13], v[116:117], s[8:9], v[6:7] op_sel:[0,0,1] op_sel_hi:[1,0,0]
	v_pk_fma_f32 v[100:101], v[116:117], s[8:9], v[6:7] op_sel:[0,0,1] op_sel_hi:[1,0,0] neg_lo:[0,0,1] neg_hi:[0,0,1]
	v_mov_b32_e32 v6, v12
	v_mov_b32_e32 v7, v101
	v_pk_add_f32 v[2:3], v[6:7], v[2:3]
	v_pk_mul_f32 v[6:7], v[88:89], s[28:29] op_sel_hi:[1,0]
	v_accvgpr_write_b32 a105, v13
	v_pk_fma_f32 v[12:13], v[120:121], s[10:11], v[6:7] op_sel:[0,0,1] op_sel_hi:[1,0,0]
	v_pk_fma_f32 v[148:149], v[120:121], s[10:11], v[6:7] op_sel:[0,0,1] op_sel_hi:[1,0,0] neg_lo:[0,0,1] neg_hi:[0,0,1]
	v_mov_b32_e32 v6, v12
	v_mov_b32_e32 v7, v149
	v_pk_add_f32 v[90:91], v[90:91], v[92:93] neg_lo:[0,1] neg_hi:[0,1]
	s_mov_b32 s16, 0xbf763a35
	v_pk_add_f32 v[2:3], v[6:7], v[2:3]
	s_mov_b32 s14, 0xbe8c1d8e
	v_pk_mul_f32 v[6:7], v[90:91], s[16:17] op_sel_hi:[1,0]
	v_accvgpr_write_b32 a107, v13
	v_pk_fma_f32 v[12:13], v[130:131], s[14:15], v[6:7] op_sel:[0,0,1] op_sel_hi:[1,0,0]
	v_pk_fma_f32 v[152:153], v[130:131], s[14:15], v[6:7] op_sel:[0,0,1] op_sel_hi:[1,0,0] neg_lo:[0,0,1] neg_hi:[0,0,1]
	v_mov_b32_e32 v6, v12
	v_mov_b32_e32 v7, v153
	v_pk_add_f32 v[92:93], v[86:87], v[80:81]
	v_pk_add_f32 v[80:81], v[80:81], v[86:87] neg_lo:[0,1] neg_hi:[0,1]
	s_mov_b32 s22, 0xbf4c4adb
	v_pk_add_f32 v[2:3], v[6:7], v[2:3]
	s_mov_b32 s18, 0xbf1a4643
	v_pk_mul_f32 v[6:7], v[80:81], s[22:23] op_sel_hi:[1,0]
	v_accvgpr_write_b32 a109, v13
	v_pk_fma_f32 v[12:13], v[92:93], s[18:19], v[6:7] op_sel:[0,0,1] op_sel_hi:[1,0,0]
	v_pk_fma_f32 v[156:157], v[92:93], s[18:19], v[6:7] op_sel:[0,0,1] op_sel_hi:[1,0,0] neg_lo:[0,0,1] neg_hi:[0,0,1]
	v_mov_b32_e32 v6, v12
	v_mov_b32_e32 v7, v157
	v_pk_add_f32 v[86:87], v[84:85], v[82:83]
	v_pk_add_f32 v[82:83], v[82:83], v[84:85] neg_lo:[0,1] neg_hi:[0,1]
	s_mov_b32 s26, 0xbf06c442
	v_pk_add_f32 v[2:3], v[6:7], v[2:3]
	s_mov_b32 s24, 0xbf59a7d5
	v_pk_mul_f32 v[6:7], v[82:83], s[26:27] op_sel_hi:[1,0]
	v_accvgpr_write_b32 a111, v13
	v_pk_fma_f32 v[12:13], v[86:87], s[24:25], v[6:7] op_sel:[0,0,1] op_sel_hi:[1,0,0]
	v_pk_fma_f32 v[160:161], v[86:87], s[24:25], v[6:7] op_sel:[0,0,1] op_sel_hi:[1,0,0] neg_lo:[0,0,1] neg_hi:[0,0,1]
	v_mov_b32_e32 v6, v12
	v_mov_b32_e32 v7, v161
	v_pk_add_f32 v[84:85], v[78:79], v[76:77]
	v_pk_add_f32 v[76:77], v[76:77], v[78:79] neg_lo:[0,1] neg_hi:[0,1]
	s_mov_b32 s34, 0xbe3c28d5
	v_pk_add_f32 v[2:3], v[6:7], v[2:3]
	s_mov_b32 s30, 0xbf7ba420
	v_pk_mul_f32 v[6:7], v[76:77], s[34:35] op_sel_hi:[1,0]
	v_accvgpr_write_b32 a113, v13
	v_pk_fma_f32 v[12:13], v[84:85], s[30:31], v[6:7] op_sel:[0,0,1] op_sel_hi:[1,0,0]
	v_pk_fma_f32 v[170:171], v[84:85], s[30:31], v[6:7] op_sel:[0,0,1] op_sel_hi:[1,0,0] neg_lo:[0,0,1] neg_hi:[0,0,1]
	v_mov_b32_e32 v6, v12
	v_mov_b32_e32 v7, v171
	v_pk_add_f32 v[2:3], v[6:7], v[2:3]
	s_barrier
	ds_write2_b64 v155, v[4:5], v[2:3] offset1:1
	v_pk_mul_f32 v[2:3], v[70:71], s[36:37] op_sel_hi:[1,0]
	s_mov_b32 s50, 0x3f06c442
	v_pk_fma_f32 v[4:5], v[0:1], s[0:1], v[2:3] op_sel:[0,0,1] op_sel_hi:[1,0,0]
	v_pk_fma_f32 v[174:175], v[0:1], s[0:1], v[2:3] op_sel:[0,0,1] op_sel_hi:[1,0,0] neg_lo:[0,0,1] neg_hi:[0,0,1]
	v_mov_b32_e32 v2, v4
	v_mov_b32_e32 v101, v5
	v_pk_mul_f32 v[4:5], v[114:115], s[28:29] op_sel_hi:[1,0]
	v_mov_b32_e32 v3, v175
	v_pk_fma_f32 v[6:7], v[74:75], s[10:11], v[4:5] op_sel:[0,0,1] op_sel_hi:[1,0,0]
	v_pk_fma_f32 v[178:179], v[74:75], s[10:11], v[4:5] op_sel:[0,0,1] op_sel_hi:[1,0,0] neg_lo:[0,0,1] neg_hi:[0,0,1]
	v_pk_add_f32 v[2:3], v[72:73], v[2:3]
	v_mov_b32_e32 v4, v6
	v_mov_b32_e32 v5, v179
	v_pk_add_f32 v[2:3], v[4:5], v[2:3]
	v_pk_mul_f32 v[4:5], v[118:119], s[22:23] op_sel_hi:[1,0]
	v_mov_b32_e32 v103, v7
	v_pk_fma_f32 v[6:7], v[116:117], s[18:19], v[4:5] op_sel:[0,0,1] op_sel_hi:[1,0,0]
	v_pk_fma_f32 v[182:183], v[116:117], s[18:19], v[4:5] op_sel:[0,0,1] op_sel_hi:[1,0,0] neg_lo:[0,0,1] neg_hi:[0,0,1]
	v_mov_b32_e32 v4, v6
	v_mov_b32_e32 v5, v183
	v_pk_add_f32 v[2:3], v[4:5], v[2:3]
	v_pk_mul_f32 v[4:5], v[88:89], s[34:35] op_sel_hi:[1,0]
	v_mov_b32_e32 v147, v7
	v_pk_fma_f32 v[6:7], v[120:121], s[30:31], v[4:5] op_sel:[0,0,1] op_sel_hi:[1,0,0]
	v_pk_fma_f32 v[186:187], v[120:121], s[30:31], v[4:5] op_sel:[0,0,1] op_sel_hi:[1,0,0] neg_lo:[0,0,1] neg_hi:[0,0,1]
	;; [unrolled: 7-line block ×3, first 2 shown]
	v_mov_b32_e32 v4, v6
	v_mov_b32_e32 v5, v191
	s_mov_b32 s46, 0x3f763a35
	v_pk_add_f32 v[2:3], v[4:5], v[2:3]
	v_pk_mul_f32 v[4:5], v[80:81], s[46:47] op_sel_hi:[1,0]
	v_mov_b32_e32 v153, v7
	v_pk_fma_f32 v[6:7], v[92:93], s[14:15], v[4:5] op_sel:[0,0,1] op_sel_hi:[1,0,0]
	v_pk_fma_f32 v[194:195], v[92:93], s[14:15], v[4:5] op_sel:[0,0,1] op_sel_hi:[1,0,0] neg_lo:[0,0,1] neg_hi:[0,0,1]
	v_mov_b32_e32 v4, v6
	v_mov_b32_e32 v5, v195
	s_mov_b32 s38, 0x3f65296c
	v_pk_add_f32 v[2:3], v[4:5], v[2:3]
	v_pk_mul_f32 v[4:5], v[82:83], s[38:39] op_sel_hi:[1,0]
	v_mov_b32_e32 v157, v7
	v_pk_fma_f32 v[6:7], v[86:87], s[8:9], v[4:5] op_sel:[0,0,1] op_sel_hi:[1,0,0]
	v_pk_fma_f32 v[198:199], v[86:87], s[8:9], v[4:5] op_sel:[0,0,1] op_sel_hi:[1,0,0] neg_lo:[0,0,1] neg_hi:[0,0,1]
	;; [unrolled: 8-line block ×3, first 2 shown]
	v_mov_b32_e32 v4, v6
	v_mov_b32_e32 v5, v203
	v_pk_add_f32 v[2:3], v[4:5], v[2:3]
	v_pk_mul_f32 v[4:5], v[70:71], s[44:45] op_sel_hi:[1,0]
	v_mov_b32_e32 v171, v7
	v_pk_fma_f32 v[6:7], v[0:1], s[8:9], v[4:5] op_sel:[0,0,1] op_sel_hi:[1,0,0]
	v_pk_fma_f32 v[206:207], v[0:1], s[8:9], v[4:5] op_sel:[0,0,1] op_sel_hi:[1,0,0] neg_lo:[0,0,1] neg_hi:[0,0,1]
	v_mov_b32_e32 v4, v6
	v_mov_b32_e32 v175, v7
	v_pk_mul_f32 v[6:7], v[114:115], s[22:23] op_sel_hi:[1,0]
	v_accvgpr_write_b32 a115, v13
	v_mov_b32_e32 v5, v207
	v_pk_fma_f32 v[12:13], v[74:75], s[18:19], v[6:7] op_sel:[0,0,1] op_sel_hi:[1,0,0]
	v_pk_fma_f32 v[210:211], v[74:75], s[18:19], v[6:7] op_sel:[0,0,1] op_sel_hi:[1,0,0] neg_lo:[0,0,1] neg_hi:[0,0,1]
	v_pk_add_f32 v[4:5], v[72:73], v[4:5]
	v_mov_b32_e32 v6, v12
	v_mov_b32_e32 v7, v211
	s_mov_b32 s54, 0x3e3c28d5
	v_pk_add_f32 v[4:5], v[6:7], v[4:5]
	v_pk_mul_f32 v[6:7], v[118:119], s[54:55] op_sel_hi:[1,0]
	v_mov_b32_e32 v179, v13
	v_pk_fma_f32 v[12:13], v[116:117], s[30:31], v[6:7] op_sel:[0,0,1] op_sel_hi:[1,0,0]
	v_pk_fma_f32 v[214:215], v[116:117], s[30:31], v[6:7] op_sel:[0,0,1] op_sel_hi:[1,0,0] neg_lo:[0,0,1] neg_hi:[0,0,1]
	v_mov_b32_e32 v6, v12
	v_mov_b32_e32 v7, v215
	v_pk_add_f32 v[4:5], v[6:7], v[4:5]
	v_pk_mul_f32 v[6:7], v[88:89], s[46:47] op_sel_hi:[1,0]
	v_mov_b32_e32 v183, v13
	v_pk_fma_f32 v[12:13], v[120:121], s[14:15], v[6:7] op_sel:[0,0,1] op_sel_hi:[1,0,0]
	v_pk_fma_f32 v[218:219], v[120:121], s[14:15], v[6:7] op_sel:[0,0,1] op_sel_hi:[1,0,0] neg_lo:[0,0,1] neg_hi:[0,0,1]
	v_mov_b32_e32 v6, v12
	v_mov_b32_e32 v7, v219
	s_mov_b32 s42, 0x3f2c7751
	v_pk_add_f32 v[4:5], v[6:7], v[4:5]
	v_pk_mul_f32 v[6:7], v[90:91], s[42:43] op_sel_hi:[1,0]
	v_mov_b32_e32 v187, v13
	v_pk_fma_f32 v[12:13], v[130:131], s[0:1], v[6:7] op_sel:[0,0,1] op_sel_hi:[1,0,0]
	v_pk_fma_f32 v[222:223], v[130:131], s[0:1], v[6:7] op_sel:[0,0,1] op_sel_hi:[1,0,0] neg_lo:[0,0,1] neg_hi:[0,0,1]
	v_mov_b32_e32 v6, v12
	v_mov_b32_e32 v7, v223
	v_pk_add_f32 v[4:5], v[6:7], v[4:5]
	v_pk_mul_f32 v[6:7], v[80:81], s[20:21] op_sel_hi:[1,0]
	v_mov_b32_e32 v191, v13
	v_pk_fma_f32 v[12:13], v[92:93], s[12:13], v[6:7] op_sel:[0,0,1] op_sel_hi:[1,0,0]
	v_pk_fma_f32 v[226:227], v[92:93], s[12:13], v[6:7] op_sel:[0,0,1] op_sel_hi:[1,0,0] neg_lo:[0,0,1] neg_hi:[0,0,1]
	v_mov_b32_e32 v6, v12
	v_mov_b32_e32 v7, v227
	v_pk_add_f32 v[4:5], v[6:7], v[4:5]
	v_pk_mul_f32 v[6:7], v[82:83], s[28:29] op_sel_hi:[1,0]
	v_mov_b32_e32 v195, v13
	v_pk_fma_f32 v[12:13], v[86:87], s[10:11], v[6:7] op_sel:[0,0,1] op_sel_hi:[1,0,0]
	v_pk_fma_f32 v[230:231], v[86:87], s[10:11], v[6:7] op_sel:[0,0,1] op_sel_hi:[1,0,0] neg_lo:[0,0,1] neg_hi:[0,0,1]
	v_mov_b32_e32 v6, v12
	v_mov_b32_e32 v7, v231
	v_pk_add_f32 v[4:5], v[6:7], v[4:5]
	v_pk_mul_f32 v[6:7], v[76:77], s[26:27] op_sel_hi:[1,0]
	v_mov_b32_e32 v199, v13
	v_pk_fma_f32 v[12:13], v[84:85], s[24:25], v[6:7] op_sel:[0,0,1] op_sel_hi:[1,0,0]
	v_pk_fma_f32 v[234:235], v[84:85], s[24:25], v[6:7] op_sel:[0,0,1] op_sel_hi:[1,0,0] neg_lo:[0,0,1] neg_hi:[0,0,1]
	v_mov_b32_e32 v6, v12
	v_mov_b32_e32 v7, v235
	v_pk_add_f32 v[4:5], v[6:7], v[4:5]
	ds_write2_b64 v155, v[2:3], v[4:5] offset0:2 offset1:3
	v_pk_mul_f32 v[2:3], v[70:71], s[28:29] op_sel_hi:[1,0]
	s_mov_b32 s52, 0x3f4c4adb
	v_pk_fma_f32 v[4:5], v[0:1], s[10:11], v[2:3] op_sel:[0,0,1] op_sel_hi:[1,0,0]
	v_pk_fma_f32 v[238:239], v[0:1], s[10:11], v[2:3] op_sel:[0,0,1] op_sel_hi:[1,0,0] neg_lo:[0,0,1] neg_hi:[0,0,1]
	v_mov_b32_e32 v2, v4
	v_mov_b32_e32 v207, v5
	v_pk_mul_f32 v[4:5], v[114:115], s[34:35] op_sel_hi:[1,0]
	v_mov_b32_e32 v3, v239
	v_pk_fma_f32 v[240:241], v[74:75], s[30:31], v[4:5] op_sel:[0,0,1] op_sel_hi:[1,0,0]
	v_pk_fma_f32 v[242:243], v[74:75], s[30:31], v[4:5] op_sel:[0,0,1] op_sel_hi:[1,0,0] neg_lo:[0,0,1] neg_hi:[0,0,1]
	v_pk_add_f32 v[2:3], v[72:73], v[2:3]
	v_mov_b32_e32 v4, v240
	v_mov_b32_e32 v5, v243
	v_pk_add_f32 v[2:3], v[4:5], v[2:3]
	v_pk_mul_f32 v[4:5], v[118:119], s[46:47] op_sel_hi:[1,0]
	v_pk_mul_f32 v[6:7], v[114:115], s[50:51] op_sel_hi:[1,0]
	v_pk_fma_f32 v[236:237], v[116:117], s[14:15], v[4:5] op_sel:[0,0,1] op_sel_hi:[1,0,0]
	v_pk_fma_f32 v[244:245], v[116:117], s[14:15], v[4:5] op_sel:[0,0,1] op_sel_hi:[1,0,0] neg_lo:[0,0,1] neg_hi:[0,0,1]
	v_mov_b32_e32 v4, v236
	v_mov_b32_e32 v5, v245
	v_pk_add_f32 v[2:3], v[4:5], v[2:3]
	v_pk_mul_f32 v[4:5], v[88:89], s[40:41] op_sel_hi:[1,0]
	v_pk_fma_f32 v[184:185], v[74:75], s[24:25], v[6:7] op_sel:[0,0,1] op_sel_hi:[1,0,0]
	v_pk_fma_f32 v[232:233], v[120:121], s[12:13], v[4:5] op_sel:[0,0,1] op_sel_hi:[1,0,0]
	v_pk_fma_f32 v[246:247], v[120:121], s[12:13], v[4:5] op_sel:[0,0,1] op_sel_hi:[1,0,0] neg_lo:[0,0,1] neg_hi:[0,0,1]
	v_mov_b32_e32 v4, v232
	v_mov_b32_e32 v5, v247
	v_pk_add_f32 v[2:3], v[4:5], v[2:3]
	v_pk_mul_f32 v[4:5], v[90:91], s[44:45] op_sel_hi:[1,0]
	v_pk_fma_f32 v[126:127], v[74:75], s[24:25], v[6:7] op_sel:[0,0,1] op_sel_hi:[1,0,0] neg_lo:[0,0,1] neg_hi:[0,0,1]
	v_pk_fma_f32 v[228:229], v[130:131], s[8:9], v[4:5] op_sel:[0,0,1] op_sel_hi:[1,0,0]
	v_pk_fma_f32 v[248:249], v[130:131], s[8:9], v[4:5] op_sel:[0,0,1] op_sel_hi:[1,0,0] neg_lo:[0,0,1] neg_hi:[0,0,1]
	v_mov_b32_e32 v4, v228
	v_mov_b32_e32 v5, v249
	v_pk_add_f32 v[2:3], v[4:5], v[2:3]
	v_pk_mul_f32 v[4:5], v[80:81], s[26:27] op_sel_hi:[1,0]
	v_mov_b32_e32 v6, v184
	v_pk_fma_f32 v[224:225], v[92:93], s[24:25], v[4:5] op_sel:[0,0,1] op_sel_hi:[1,0,0]
	v_pk_fma_f32 v[252:253], v[92:93], s[24:25], v[4:5] op_sel:[0,0,1] op_sel_hi:[1,0,0] neg_lo:[0,0,1] neg_hi:[0,0,1]
	v_mov_b32_e32 v4, v224
	v_mov_b32_e32 v5, v253
	v_pk_add_f32 v[2:3], v[4:5], v[2:3]
	v_pk_mul_f32 v[4:5], v[82:83], s[52:53] op_sel_hi:[1,0]
	v_mov_b32_e32 v7, v127
	v_pk_fma_f32 v[220:221], v[86:87], s[18:19], v[4:5] op_sel:[0,0,1] op_sel_hi:[1,0,0]
	v_pk_fma_f32 v[254:255], v[86:87], s[18:19], v[4:5] op_sel:[0,0,1] op_sel_hi:[1,0,0] neg_lo:[0,0,1] neg_hi:[0,0,1]
	v_mov_b32_e32 v4, v220
	v_mov_b32_e32 v5, v255
	v_pk_add_f32 v[2:3], v[4:5], v[2:3]
	v_pk_mul_f32 v[4:5], v[76:77], s[42:43] op_sel_hi:[1,0]
	s_mov_b32 s48, 0x3f7ee86f
	v_pk_fma_f32 v[216:217], v[84:85], s[0:1], v[4:5] op_sel:[0,0,1] op_sel_hi:[1,0,0]
	v_pk_fma_f32 v[110:111], v[84:85], s[0:1], v[4:5] op_sel:[0,0,1] op_sel_hi:[1,0,0] neg_lo:[0,0,1] neg_hi:[0,0,1]
	v_mov_b32_e32 v4, v216
	v_mov_b32_e32 v5, v111
	v_pk_add_f32 v[4:5], v[4:5], v[2:3]
	v_pk_mul_f32 v[2:3], v[70:71], s[16:17] op_sel_hi:[1,0]
	v_mov_b32_e32 v203, v13
	v_pk_fma_f32 v[188:189], v[0:1], s[14:15], v[2:3] op_sel:[0,0,1] op_sel_hi:[1,0,0]
	v_pk_fma_f32 v[122:123], v[0:1], s[14:15], v[2:3] op_sel:[0,0,1] op_sel_hi:[1,0,0] neg_lo:[0,0,1] neg_hi:[0,0,1]
	v_mov_b32_e32 v2, v188
	v_mov_b32_e32 v3, v123
	v_pk_add_f32 v[2:3], v[72:73], v[2:3]
	v_pk_mul_f32 v[166:167], v[114:115], s[38:39] op_sel_hi:[1,0]
	v_pk_add_f32 v[2:3], v[6:7], v[2:3]
	v_pk_mul_f32 v[6:7], v[118:119], s[42:43] op_sel_hi:[1,0]
	v_pk_fma_f32 v[44:45], v[74:75], s[8:9], v[166:167] op_sel:[0,0,1] op_sel_hi:[1,0,0]
	v_pk_fma_f32 v[180:181], v[116:117], s[0:1], v[6:7] op_sel:[0,0,1] op_sel_hi:[1,0,0]
	v_pk_fma_f32 v[134:135], v[116:117], s[0:1], v[6:7] op_sel:[0,0,1] op_sel_hi:[1,0,0] neg_lo:[0,0,1] neg_hi:[0,0,1]
	v_mov_b32_e32 v6, v180
	v_mov_b32_e32 v7, v135
	v_pk_add_f32 v[2:3], v[6:7], v[2:3]
	v_pk_mul_f32 v[6:7], v[88:89], s[44:45] op_sel_hi:[1,0]
	v_pk_fma_f32 v[46:47], v[74:75], s[8:9], v[166:167] op_sel:[0,0,1] op_sel_hi:[1,0,0] neg_lo:[0,0,1] neg_hi:[0,0,1]
	v_pk_fma_f32 v[98:99], v[120:121], s[8:9], v[6:7] op_sel:[0,0,1] op_sel_hi:[1,0,0]
	v_pk_fma_f32 v[138:139], v[120:121], s[8:9], v[6:7] op_sel:[0,0,1] op_sel_hi:[1,0,0] neg_lo:[0,0,1] neg_hi:[0,0,1]
	v_mov_b32_e32 v6, v98
	v_mov_b32_e32 v7, v139
	v_pk_add_f32 v[2:3], v[6:7], v[2:3]
	v_pk_mul_f32 v[6:7], v[90:91], s[34:35] op_sel_hi:[1,0]
	v_mov_b32_e32 v98, v155
	v_pk_fma_f32 v[104:105], v[130:131], s[30:31], v[6:7] op_sel:[0,0,1] op_sel_hi:[1,0,0]
	v_pk_fma_f32 v[142:143], v[130:131], s[30:31], v[6:7] op_sel:[0,0,1] op_sel_hi:[1,0,0] neg_lo:[0,0,1] neg_hi:[0,0,1]
	v_mov_b32_e32 v6, v104
	v_mov_b32_e32 v7, v143
	v_pk_add_f32 v[2:3], v[6:7], v[2:3]
	v_pk_mul_f32 v[6:7], v[80:81], s[48:49] op_sel_hi:[1,0]
	v_mov_b32_e32 v166, v44
	;; [unrolled: 7-line block ×4, first 2 shown]
	v_pk_fma_f32 v[140:141], v[84:85], s[18:19], v[12:13] op_sel:[0,0,1] op_sel_hi:[1,0,0]
	v_pk_fma_f32 v[162:163], v[84:85], s[18:19], v[12:13] op_sel:[0,0,1] op_sel_hi:[1,0,0] neg_lo:[0,0,1] neg_hi:[0,0,1]
	v_mov_b32_e32 v12, v140
	v_mov_b32_e32 v13, v163
	v_pk_add_f32 v[6:7], v[12:13], v[6:7]
	ds_write2_b64 v155, v[4:5], v[6:7] offset0:4 offset1:5
	v_pk_mul_f32 v[4:5], v[70:71], s[22:23] op_sel_hi:[1,0]
	v_mov_b32_e32 v123, v189
	v_pk_fma_f32 v[154:155], v[0:1], s[18:19], v[4:5] op_sel:[0,0,1] op_sel_hi:[1,0,0]
	v_pk_fma_f32 v[18:19], v[0:1], s[18:19], v[4:5] op_sel:[0,0,1] op_sel_hi:[1,0,0] neg_lo:[0,0,1] neg_hi:[0,0,1]
	v_mov_b32_e32 v4, v154
	v_mov_b32_e32 v5, v19
	v_pk_add_f32 v[6:7], v[72:73], v[4:5]
	v_pk_mul_f32 v[4:5], v[114:115], s[46:47] op_sel_hi:[1,0]
	v_mov_b32_e32 v19, v155
	v_pk_fma_f32 v[124:125], v[74:75], s[14:15], v[4:5] op_sel:[0,0,1] op_sel_hi:[1,0,0]
	v_pk_fma_f32 v[4:5], v[74:75], s[14:15], v[4:5] op_sel:[0,0,1] op_sel_hi:[1,0,0] neg_lo:[0,0,1] neg_hi:[0,0,1]
	v_mov_b32_e32 v12, v124
	v_mov_b32_e32 v13, v5
	v_pk_add_f32 v[12:13], v[12:13], v[6:7]
	v_pk_mul_f32 v[6:7], v[118:119], s[20:21] op_sel_hi:[1,0]
	v_pk_add_f32 v[18:19], v[72:73], v[18:19]
	v_pk_fma_f32 v[136:137], v[116:117], s[12:13], v[6:7] op_sel:[0,0,1] op_sel_hi:[1,0,0]
	v_pk_fma_f32 v[6:7], v[116:117], s[12:13], v[6:7] op_sel:[0,0,1] op_sel_hi:[1,0,0] neg_lo:[0,0,1] neg_hi:[0,0,1]
	v_mov_b32_e32 v14, v136
	v_mov_b32_e32 v15, v7
	v_pk_add_f32 v[14:15], v[14:15], v[12:13]
	v_pk_mul_f32 v[12:13], v[88:89], s[26:27] op_sel_hi:[1,0]
	v_mov_b32_e32 v5, v125
	v_pk_fma_f32 v[128:129], v[120:121], s[24:25], v[12:13] op_sel:[0,0,1] op_sel_hi:[1,0,0]
	v_pk_fma_f32 v[12:13], v[120:121], s[24:25], v[12:13] op_sel:[0,0,1] op_sel_hi:[1,0,0] neg_lo:[0,0,1] neg_hi:[0,0,1]
	v_mov_b32_e32 v16, v128
	v_mov_b32_e32 v17, v13
	v_pk_add_f32 v[16:17], v[16:17], v[14:15]
	v_pk_mul_f32 v[14:15], v[90:91], s[48:49] op_sel_hi:[1,0]
	v_pk_add_f32 v[4:5], v[4:5], v[18:19]
	;; [unrolled: 14-line block ×4, first 2 shown]
	v_pk_fma_f32 v[164:165], v[0:1], s[24:25], v[96:97] op_sel:[0,0,1] op_sel_hi:[1,0,0]
	v_pk_fma_f32 v[96:97], v[0:1], s[24:25], v[96:97] op_sel:[0,0,1] op_sel_hi:[1,0,0] neg_lo:[0,0,1] neg_hi:[0,0,1]
	v_mov_b32_e32 v20, v164
	v_mov_b32_e32 v21, v97
	v_pk_add_f32 v[20:21], v[72:73], v[20:21]
	v_mov_b32_e32 v97, v165
	v_pk_add_f32 v[20:21], v[166:167], v[20:21]
	v_pk_mul_f32 v[166:167], v[118:119], s[28:29] op_sel_hi:[1,0]
	v_mov_b32_e32 v15, v113
	v_pk_fma_f32 v[48:49], v[116:117], s[10:11], v[166:167] op_sel:[0,0,1] op_sel_hi:[1,0,0]
	v_pk_fma_f32 v[50:51], v[116:117], s[10:11], v[166:167] op_sel:[0,0,1] op_sel_hi:[1,0,0] neg_lo:[0,0,1] neg_hi:[0,0,1]
	v_mov_b32_e32 v166, v48
	v_mov_b32_e32 v167, v51
	v_pk_add_f32 v[20:21], v[166:167], v[20:21]
	v_pk_mul_f32 v[166:167], v[88:89], s[52:53] op_sel_hi:[1,0]
	v_mov_b32_e32 v51, v49
	v_pk_fma_f32 v[56:57], v[120:121], s[18:19], v[166:167] op_sel:[0,0,1] op_sel_hi:[1,0,0]
	v_pk_fma_f32 v[58:59], v[120:121], s[18:19], v[166:167] op_sel:[0,0,1] op_sel_hi:[1,0,0] neg_lo:[0,0,1] neg_hi:[0,0,1]
	v_mov_b32_e32 v166, v56
	;; [unrolled: 7-line block ×5, first 2 shown]
	v_mov_b32_e32 v213, v23
	v_pk_add_f32 v[20:21], v[212:213], v[20:21]
	v_pk_mul_f32 v[212:213], v[76:77], s[16:17] op_sel_hi:[1,0]
	v_pk_add_f32 v[4:5], v[14:15], v[4:5]
	v_pk_fma_f32 v[250:251], v[84:85], s[14:15], v[212:213] op_sel:[0,0,1] op_sel_hi:[1,0,0]
	v_pk_fma_f32 v[212:213], v[84:85], s[14:15], v[212:213] op_sel:[0,0,1] op_sel_hi:[1,0,0] neg_lo:[0,0,1] neg_hi:[0,0,1]
	v_mov_b32_e32 v196, v250
	v_mov_b32_e32 v197, v213
	v_pk_add_f32 v[20:21], v[196:197], v[20:21]
	ds_write2_b64 v98, v[78:79], v[20:21] offset0:6 offset1:7
	v_pk_mul_f32 v[20:21], v[70:71], s[34:35] op_sel_hi:[1,0]
	v_mov_b32_e32 v17, v107
	v_pk_fma_f32 v[70:71], v[0:1], s[30:31], v[20:21] op_sel:[0,0,1] op_sel_hi:[1,0,0]
	v_pk_fma_f32 v[0:1], v[0:1], s[30:31], v[20:21] op_sel:[0,0,1] op_sel_hi:[1,0,0] neg_lo:[0,0,1] neg_hi:[0,0,1]
	v_pk_mul_f32 v[20:21], v[114:115], s[40:41] op_sel_hi:[1,0]
	v_mov_b32_e32 v23, v201
	v_pk_fma_f32 v[78:79], v[74:75], s[12:13], v[20:21] op_sel:[0,0,1] op_sel_hi:[1,0,0]
	v_pk_fma_f32 v[20:21], v[74:75], s[12:13], v[20:21] op_sel:[0,0,1] op_sel_hi:[1,0,0] neg_lo:[0,0,1] neg_hi:[0,0,1]
	v_mov_b32_e32 v75, v1
	v_mov_b32_e32 v1, v71
	;; [unrolled: 1-line block ×4, first 2 shown]
	v_pk_add_f32 v[0:1], v[72:73], v[0:1]
	v_pk_add_f32 v[4:5], v[16:17], v[4:5]
	;; [unrolled: 1-line block ×4, first 2 shown]
	v_mov_b32_e32 v69, v159
	v_pk_add_f32 v[20:21], v[46:47], v[20:21]
	v_mov_b32_e32 v213, v251
	v_pk_add_f32 v[20:21], v[50:51], v[20:21]
	v_pk_add_f32 v[4:5], v[68:69], v[4:5]
	;; [unrolled: 1-line block ×3, first 2 shown]
	v_mov_b32_e32 v95, v173
	v_pk_add_f32 v[20:21], v[166:167], v[20:21]
	v_pk_add_f32 v[4:5], v[94:95], v[4:5]
	v_pk_add_f32 v[20:21], v[168:169], v[20:21]
	v_mov_b32_e32 v127, v185
	v_pk_add_f32 v[20:21], v[22:23], v[20:21]
	v_mov_b32_e32 v135, v181
	v_pk_add_f32 v[20:21], v[212:213], v[20:21]
	ds_write2_b64 v98, v[20:21], v[4:5] offset0:10 offset1:11
	v_pk_add_f32 v[4:5], v[72:73], v[122:123]
	v_mov_b32_e32 v139, v99
	v_pk_add_f32 v[4:5], v[126:127], v[4:5]
	v_mov_b32_e32 v143, v105
	;; [unrolled: 2-line block ×6, first 2 shown]
	v_pk_add_f32 v[2:3], v[2:3], v[4:5]
	v_pk_add_f32 v[4:5], v[72:73], v[238:239]
	v_mov_b32_e32 v245, v237
	v_pk_add_f32 v[4:5], v[242:243], v[4:5]
	v_mov_b32_e32 v247, v233
	;; [unrolled: 2-line block ×7, first 2 shown]
	v_mov_b32_e32 v74, v70
	v_pk_add_f32 v[2:3], v[162:163], v[2:3]
	v_pk_add_f32 v[4:5], v[110:111], v[4:5]
	v_mov_b32_e32 v207, v175
	v_mov_b32_e32 v175, v101
	v_pk_add_f32 v[74:75], v[72:73], v[74:75]
	v_mov_b32_e32 v114, v78
	ds_write2_b64 v98, v[2:3], v[4:5] offset0:12 offset1:13
	v_pk_add_f32 v[2:3], v[72:73], v[206:207]
	v_mov_b32_e32 v211, v179
	v_pk_add_f32 v[4:5], v[72:73], v[174:175]
	v_mov_b32_e32 v179, v103
	v_pk_add_f32 v[74:75], v[114:115], v[74:75]
	v_pk_mul_f32 v[114:115], v[118:119], s[26:27] op_sel_hi:[1,0]
	v_pk_add_f32 v[2:3], v[210:211], v[2:3]
	v_mov_b32_e32 v215, v183
	v_pk_add_f32 v[4:5], v[178:179], v[4:5]
	v_mov_b32_e32 v183, v147
	v_pk_fma_f32 v[118:119], v[116:117], s[24:25], v[114:115] op_sel:[0,0,1] op_sel_hi:[1,0,0]
	v_pk_fma_f32 v[114:115], v[116:117], s[24:25], v[114:115] op_sel:[0,0,1] op_sel_hi:[1,0,0] neg_lo:[0,0,1] neg_hi:[0,0,1]
	v_pk_add_f32 v[2:3], v[214:215], v[2:3]
	v_mov_b32_e32 v219, v187
	v_pk_add_f32 v[4:5], v[182:183], v[4:5]
	v_mov_b32_e32 v187, v149
	v_mov_b32_e32 v116, v118
	;; [unrolled: 1-line block ×3, first 2 shown]
	v_pk_mul_f32 v[88:89], v[88:89], s[42:43] op_sel_hi:[1,0]
	v_pk_add_f32 v[2:3], v[218:219], v[2:3]
	v_mov_b32_e32 v223, v191
	v_pk_add_f32 v[4:5], v[186:187], v[4:5]
	v_mov_b32_e32 v191, v153
	v_pk_add_f32 v[74:75], v[116:117], v[74:75]
	v_pk_fma_f32 v[116:117], v[120:121], s[0:1], v[88:89] op_sel:[0,0,1] op_sel_hi:[1,0,0]
	v_pk_fma_f32 v[88:89], v[120:121], s[0:1], v[88:89] op_sel:[0,0,1] op_sel_hi:[1,0,0] neg_lo:[0,0,1] neg_hi:[0,0,1]
	v_pk_add_f32 v[2:3], v[222:223], v[2:3]
	v_mov_b32_e32 v227, v195
	v_pk_add_f32 v[4:5], v[190:191], v[4:5]
	v_mov_b32_e32 v195, v157
	v_mov_b32_e32 v120, v116
	;; [unrolled: 1-line block ×3, first 2 shown]
	v_pk_mul_f32 v[90:91], v[90:91], s[22:23] op_sel_hi:[1,0]
	v_pk_add_f32 v[2:3], v[226:227], v[2:3]
	v_mov_b32_e32 v231, v199
	v_pk_add_f32 v[4:5], v[194:195], v[4:5]
	v_mov_b32_e32 v199, v161
	v_pk_add_f32 v[74:75], v[120:121], v[74:75]
	v_pk_fma_f32 v[120:121], v[130:131], s[18:19], v[90:91] op_sel:[0,0,1] op_sel_hi:[1,0,0]
	v_pk_fma_f32 v[90:91], v[130:131], s[18:19], v[90:91] op_sel:[0,0,1] op_sel_hi:[1,0,0] neg_lo:[0,0,1] neg_hi:[0,0,1]
	v_pk_add_f32 v[2:3], v[230:231], v[2:3]
	v_mov_b32_e32 v235, v203
	v_pk_add_f32 v[4:5], v[198:199], v[4:5]
	v_mov_b32_e32 v203, v171
	v_mov_b32_e32 v130, v120
	;; [unrolled: 1-line block ×3, first 2 shown]
	v_pk_mul_f32 v[80:81], v[80:81], s[38:39] op_sel_hi:[1,0]
	v_pk_add_f32 v[2:3], v[234:235], v[2:3]
	v_pk_add_f32 v[4:5], v[202:203], v[4:5]
	v_accvgpr_read_b32 v147, a101
	v_pk_add_f32 v[74:75], v[130:131], v[74:75]
	v_pk_fma_f32 v[130:131], v[92:93], s[8:9], v[80:81] op_sel:[0,0,1] op_sel_hi:[1,0,0]
	v_pk_fma_f32 v[80:81], v[92:93], s[8:9], v[80:81] op_sel:[0,0,1] op_sel_hi:[1,0,0] neg_lo:[0,0,1] neg_hi:[0,0,1]
	v_mov_b32_e32 v115, v119
	ds_write2_b64 v98, v[2:3], v[4:5] offset0:14 offset1:15
	v_pk_add_f32 v[2:3], v[72:73], v[146:147]
	v_accvgpr_read_b32 v103, a103
	v_mov_b32_e32 v92, v130
	v_mov_b32_e32 v93, v81
	v_pk_mul_f32 v[82:83], v[82:83], s[16:17] op_sel_hi:[1,0]
	v_pk_add_f32 v[0:1], v[114:115], v[0:1]
	v_mov_b32_e32 v89, v117
	v_pk_add_f32 v[2:3], v[102:103], v[2:3]
	v_accvgpr_read_b32 v101, a105
	v_pk_add_f32 v[74:75], v[92:93], v[74:75]
	v_pk_fma_f32 v[92:93], v[86:87], s[14:15], v[82:83] op_sel:[0,0,1] op_sel_hi:[1,0,0]
	v_pk_fma_f32 v[82:83], v[86:87], s[14:15], v[82:83] op_sel:[0,0,1] op_sel_hi:[1,0,0] neg_lo:[0,0,1] neg_hi:[0,0,1]
	v_pk_add_f32 v[0:1], v[88:89], v[0:1]
	v_mov_b32_e32 v91, v121
	v_pk_add_f32 v[2:3], v[100:101], v[2:3]
	v_accvgpr_read_b32 v149, a107
	v_mov_b32_e32 v86, v92
	v_mov_b32_e32 v87, v83
	v_pk_mul_f32 v[76:77], v[76:77], s[48:49] op_sel_hi:[1,0]
	v_pk_add_f32 v[0:1], v[90:91], v[0:1]
	v_mov_b32_e32 v81, v131
	v_pk_add_f32 v[2:3], v[148:149], v[2:3]
	v_accvgpr_read_b32 v153, a109
	v_pk_add_f32 v[74:75], v[86:87], v[74:75]
	v_pk_fma_f32 v[86:87], v[84:85], s[10:11], v[76:77] op_sel:[0,0,1] op_sel_hi:[1,0,0]
	v_pk_fma_f32 v[76:77], v[84:85], s[10:11], v[76:77] op_sel:[0,0,1] op_sel_hi:[1,0,0] neg_lo:[0,0,1] neg_hi:[0,0,1]
	v_pk_add_f32 v[0:1], v[80:81], v[0:1]
	v_mov_b32_e32 v83, v93
	v_pk_add_f32 v[2:3], v[152:153], v[2:3]
	v_accvgpr_read_b32 v157, a111
	v_mov_b32_e32 v84, v86
	v_mov_b32_e32 v85, v77
	v_pk_add_f32 v[0:1], v[82:83], v[0:1]
	v_mov_b32_e32 v77, v87
	v_pk_add_f32 v[2:3], v[156:157], v[2:3]
	v_accvgpr_read_b32 v161, a113
	v_pk_add_f32 v[74:75], v[84:85], v[74:75]
	v_pk_add_f32 v[0:1], v[76:77], v[0:1]
	;; [unrolled: 1-line block ×3, first 2 shown]
	v_accvgpr_read_b32 v171, a115
	ds_write2_b64 v98, v[74:75], v[0:1] offset0:8 offset1:9
	v_mov_b32_e32 v0, v8
	v_mov_b32_e32 v1, v8
	v_mov_b32_e32 v8, v9
	v_mov_b32_e32 v70, v10
	v_mov_b32_e32 v71, v10
	v_mov_b32_e32 v10, v11
	v_mov_b32_e32 v78, v36
	v_mov_b32_e32 v79, v36
	v_mov_b32_e32 v36, v37
	v_mov_b32_e32 v80, v38
	v_mov_b32_e32 v81, v38
	v_mov_b32_e32 v38, v39
	v_mov_b32_e32 v76, v32
	v_mov_b32_e32 v77, v32
	v_mov_b32_e32 v32, v33
	v_mov_b32_e32 v176, v34
	v_mov_b32_e32 v177, v34
	v_mov_b32_e32 v34, v35
	v_mov_b32_e32 v82, v28
	v_mov_b32_e32 v83, v28
	v_mov_b32_e32 v28, v29
	v_mov_b32_e32 v88, v30
	v_mov_b32_e32 v89, v30
	v_mov_b32_e32 v30, v31
	v_mov_b32_e32 v86, v24
	v_mov_b32_e32 v87, v24
	v_mov_b32_e32 v24, v25
	v_mov_b32_e32 v92, v26
	v_mov_b32_e32 v93, v26
	v_mov_b32_e32 v26, v27
	v_mov_b32_e32 v84, v40
	v_mov_b32_e32 v85, v40
	v_mov_b32_e32 v40, v41
	v_mov_b32_e32 v90, v42
	v_mov_b32_e32 v91, v42
	v_mov_b32_e32 v42, v43
	v_add_u32_e32 v97, 0x88, v193
	v_add_u32_e32 v96, 0x110, v193
	v_pk_add_f32 v[2:3], v[170:171], v[2:3]
	ds_write_b64 v98, v[2:3] offset:128
	s_and_saveexec_b64 s[56:57], vcc
	s_cbranch_execz .LBB0_13
; %bb.12:
	v_pk_add_f32 v[2:3], v[64:65], v[144:145]
	v_accvgpr_read_b32 v58, a98
	v_pk_add_f32 v[2:3], v[66:67], v[2:3]
	v_accvgpr_read_b32 v59, a99
	v_accvgpr_read_b32 v22, a54
	v_pk_add_f32 v[2:3], v[58:59], v[2:3]
	v_accvgpr_read_b32 v23, a55
	;; [unrolled: 3-line block ×10, first 2 shown]
	v_accvgpr_read_b32 v14, a46
	v_accvgpr_read_b32 v4, a1
	;; [unrolled: 1-line block ×3, first 2 shown]
	v_pk_add_f32 v[2:3], v[16:17], v[2:3]
	v_accvgpr_read_b32 v15, a47
	v_accvgpr_read_b32 v12, a44
	v_lshl_add_u32 v193, v5, 3, v4
	v_pk_add_f32 v[2:3], v[14:15], v[2:3]
	v_accvgpr_read_b32 v13, a45
	v_accvgpr_read_b32 v6, a42
	;; [unrolled: 1-line block ×3, first 2 shown]
	v_pk_add_f32 v[2:3], v[12:13], v[2:3]
	v_accvgpr_read_b32 v7, a43
	v_accvgpr_read_b32 v5, a41
	v_pk_add_f32 v[2:3], v[6:7], v[2:3]
	v_pk_add_f32 v[128:129], v[64:65], v[4:5] neg_lo:[0,1] neg_hi:[0,1]
	v_pk_add_f32 v[2:3], v[4:5], v[2:3]
	v_pk_add_f32 v[126:127], v[4:5], v[64:65]
	v_pk_mul_f32 v[4:5], v[128:129], s[20:21] op_sel_hi:[1,0]
	v_pk_add_f32 v[122:123], v[6:7], v[66:67]
	v_pk_add_f32 v[124:125], v[66:67], v[6:7] neg_lo:[0,1] neg_hi:[0,1]
	v_pk_fma_f32 v[6:7], v[126:127], s[12:13], v[4:5] op_sel:[0,0,1] op_sel_hi:[1,0,0]
	v_pk_fma_f32 v[148:149], v[126:127], s[12:13], v[4:5] op_sel:[0,0,1] op_sel_hi:[1,0,0] neg_lo:[0,0,1] neg_hi:[0,0,1]
	v_mov_b32_e32 v4, v6
	v_accvgpr_write_b32 a1, v7
	v_pk_mul_f32 v[6:7], v[124:125], s[36:37] op_sel_hi:[1,0]
	v_pk_add_f32 v[118:119], v[12:13], v[58:59]
	v_pk_add_f32 v[120:121], v[58:59], v[12:13] neg_lo:[0,1] neg_hi:[0,1]
	v_mov_b32_e32 v5, v149
	v_pk_fma_f32 v[12:13], v[122:123], s[0:1], v[6:7] op_sel:[0,0,1] op_sel_hi:[1,0,0]
	v_pk_fma_f32 v[142:143], v[122:123], s[0:1], v[6:7] op_sel:[0,0,1] op_sel_hi:[1,0,0] neg_lo:[0,0,1] neg_hi:[0,0,1]
	v_pk_add_f32 v[4:5], v[144:145], v[4:5]
	v_mov_b32_e32 v6, v12
	v_mov_b32_e32 v7, v143
	v_pk_add_f32 v[4:5], v[6:7], v[4:5]
	v_pk_mul_f32 v[6:7], v[120:121], s[44:45] op_sel_hi:[1,0]
	v_accvgpr_write_b32 a41, v13
	v_pk_fma_f32 v[12:13], v[118:119], s[8:9], v[6:7] op_sel:[0,0,1] op_sel_hi:[1,0,0]
	v_pk_fma_f32 v[138:139], v[118:119], s[8:9], v[6:7] op_sel:[0,0,1] op_sel_hi:[1,0,0] neg_lo:[0,0,1] neg_hi:[0,0,1]
	v_pk_add_f32 v[116:117], v[22:23], v[14:15] neg_lo:[0,1] neg_hi:[0,1]
	v_mov_b32_e32 v6, v12
	v_mov_b32_e32 v7, v139
	v_pk_add_f32 v[114:115], v[14:15], v[22:23]
	v_pk_add_f32 v[4:5], v[6:7], v[4:5]
	v_pk_mul_f32 v[6:7], v[116:117], s[28:29] op_sel_hi:[1,0]
	v_accvgpr_write_b32 a43, v13
	v_pk_fma_f32 v[12:13], v[114:115], s[10:11], v[6:7] op_sel:[0,0,1] op_sel_hi:[1,0,0]
	v_pk_fma_f32 v[134:135], v[114:115], s[10:11], v[6:7] op_sel:[0,0,1] op_sel_hi:[1,0,0] neg_lo:[0,0,1] neg_hi:[0,0,1]
	v_pk_add_f32 v[230:231], v[20:21], v[16:17] neg_lo:[0,1] neg_hi:[0,1]
	v_mov_b32_e32 v6, v12
	v_mov_b32_e32 v7, v135
	v_pk_add_f32 v[228:229], v[16:17], v[20:21]
	;; [unrolled: 9-line block ×5, first 2 shown]
	v_pk_add_f32 v[4:5], v[6:7], v[4:5]
	v_pk_mul_f32 v[6:7], v[218:219], s[34:35] op_sel_hi:[1,0]
	v_accvgpr_write_b32 a51, v13
	v_pk_fma_f32 v[12:13], v[216:217], s[30:31], v[6:7] op_sel:[0,0,1] op_sel_hi:[1,0,0]
	v_pk_fma_f32 v[94:95], v[216:217], s[30:31], v[6:7] op_sel:[0,0,1] op_sel_hi:[1,0,0] neg_lo:[0,0,1] neg_hi:[0,0,1]
	v_mov_b32_e32 v6, v12
	v_mov_b32_e32 v7, v95
	v_pk_add_f32 v[4:5], v[6:7], v[4:5]
	ds_write2_b64 v193, v[2:3], v[4:5] offset1:1
	v_pk_mul_f32 v[2:3], v[128:129], s[36:37] op_sel_hi:[1,0]
	v_accvgpr_write_b32 a53, v13
	v_pk_fma_f32 v[4:5], v[126:127], s[0:1], v[2:3] op_sel:[0,0,1] op_sel_hi:[1,0,0]
	v_pk_fma_f32 v[72:73], v[126:127], s[0:1], v[2:3] op_sel:[0,0,1] op_sel_hi:[1,0,0] neg_lo:[0,0,1] neg_hi:[0,0,1]
	v_mov_b32_e32 v2, v4
	v_mov_b32_e32 v95, v5
	v_pk_mul_f32 v[4:5], v[124:125], s[28:29] op_sel_hi:[1,0]
	v_mov_b32_e32 v3, v73
	v_pk_fma_f32 v[6:7], v[122:123], s[10:11], v[4:5] op_sel:[0,0,1] op_sel_hi:[1,0,0]
	v_pk_fma_f32 v[162:163], v[122:123], s[10:11], v[4:5] op_sel:[0,0,1] op_sel_hi:[1,0,0] neg_lo:[0,0,1] neg_hi:[0,0,1]
	v_pk_add_f32 v[2:3], v[144:145], v[2:3]
	v_mov_b32_e32 v4, v6
	v_mov_b32_e32 v5, v163
	v_pk_add_f32 v[2:3], v[4:5], v[2:3]
	v_pk_mul_f32 v[4:5], v[120:121], s[22:23] op_sel_hi:[1,0]
	v_mov_b32_e32 v101, v7
	v_pk_fma_f32 v[6:7], v[118:119], s[18:19], v[4:5] op_sel:[0,0,1] op_sel_hi:[1,0,0]
	v_pk_fma_f32 v[68:69], v[118:119], s[18:19], v[4:5] op_sel:[0,0,1] op_sel_hi:[1,0,0] neg_lo:[0,0,1] neg_hi:[0,0,1]
	v_mov_b32_e32 v4, v6
	v_mov_b32_e32 v5, v69
	v_pk_add_f32 v[2:3], v[4:5], v[2:3]
	v_pk_mul_f32 v[4:5], v[116:117], s[34:35] op_sel_hi:[1,0]
	v_mov_b32_e32 v103, v7
	v_pk_fma_f32 v[6:7], v[114:115], s[30:31], v[4:5] op_sel:[0,0,1] op_sel_hi:[1,0,0]
	v_pk_fma_f32 v[66:67], v[114:115], s[30:31], v[4:5] op_sel:[0,0,1] op_sel_hi:[1,0,0] neg_lo:[0,0,1] neg_hi:[0,0,1]
	;; [unrolled: 7-line block ×7, first 2 shown]
	v_mov_b32_e32 v4, v6
	v_mov_b32_e32 v65, v7
	v_pk_mul_f32 v[6:7], v[124:125], s[22:23] op_sel_hi:[1,0]
	v_mov_b32_e32 v5, v111
	v_pk_fma_f32 v[12:13], v[122:123], s[18:19], v[6:7] op_sel:[0,0,1] op_sel_hi:[1,0,0]
	v_pk_fma_f32 v[190:191], v[122:123], s[18:19], v[6:7] op_sel:[0,0,1] op_sel_hi:[1,0,0] neg_lo:[0,0,1] neg_hi:[0,0,1]
	v_pk_add_f32 v[4:5], v[144:145], v[4:5]
	v_mov_b32_e32 v6, v12
	v_mov_b32_e32 v7, v191
	v_pk_add_f32 v[4:5], v[6:7], v[4:5]
	v_pk_mul_f32 v[6:7], v[120:121], s[54:55] op_sel_hi:[1,0]
	v_mov_b32_e32 v67, v13
	v_pk_fma_f32 v[12:13], v[118:119], s[30:31], v[6:7] op_sel:[0,0,1] op_sel_hi:[1,0,0]
	v_pk_fma_f32 v[194:195], v[118:119], s[30:31], v[6:7] op_sel:[0,0,1] op_sel_hi:[1,0,0] neg_lo:[0,0,1] neg_hi:[0,0,1]
	v_mov_b32_e32 v6, v12
	v_mov_b32_e32 v7, v195
	v_pk_add_f32 v[4:5], v[6:7], v[4:5]
	v_pk_mul_f32 v[6:7], v[116:117], s[46:47] op_sel_hi:[1,0]
	v_mov_b32_e32 v69, v13
	v_pk_fma_f32 v[12:13], v[114:115], s[14:15], v[6:7] op_sel:[0,0,1] op_sel_hi:[1,0,0]
	v_pk_fma_f32 v[198:199], v[114:115], s[14:15], v[6:7] op_sel:[0,0,1] op_sel_hi:[1,0,0] neg_lo:[0,0,1] neg_hi:[0,0,1]
	;; [unrolled: 7-line block ×6, first 2 shown]
	v_mov_b32_e32 v6, v12
	v_mov_b32_e32 v7, v215
	v_pk_add_f32 v[4:5], v[6:7], v[4:5]
	ds_write2_b64 v193, v[2:3], v[4:5] offset0:2 offset1:3
	v_pk_mul_f32 v[2:3], v[128:129], s[28:29] op_sel_hi:[1,0]
	v_mov_b32_e32 v189, v13
	v_pk_fma_f32 v[4:5], v[126:127], s[10:11], v[2:3] op_sel:[0,0,1] op_sel_hi:[1,0,0]
	v_pk_fma_f32 v[106:107], v[126:127], s[10:11], v[2:3] op_sel:[0,0,1] op_sel_hi:[1,0,0] neg_lo:[0,0,1] neg_hi:[0,0,1]
	v_mov_b32_e32 v2, v4
	v_mov_b32_e32 v111, v5
	v_pk_mul_f32 v[4:5], v[124:125], s[34:35] op_sel_hi:[1,0]
	v_mov_b32_e32 v3, v107
	v_pk_fma_f32 v[6:7], v[122:123], s[30:31], v[4:5] op_sel:[0,0,1] op_sel_hi:[1,0,0]
	v_pk_fma_f32 v[132:133], v[122:123], s[30:31], v[4:5] op_sel:[0,0,1] op_sel_hi:[1,0,0] neg_lo:[0,0,1] neg_hi:[0,0,1]
	v_pk_add_f32 v[2:3], v[144:145], v[2:3]
	v_mov_b32_e32 v4, v6
	v_mov_b32_e32 v5, v133
	v_pk_add_f32 v[2:3], v[4:5], v[2:3]
	v_pk_mul_f32 v[4:5], v[120:121], s[46:47] op_sel_hi:[1,0]
	v_mov_b32_e32 v191, v7
	v_pk_fma_f32 v[6:7], v[118:119], s[14:15], v[4:5] op_sel:[0,0,1] op_sel_hi:[1,0,0]
	v_pk_fma_f32 v[136:137], v[118:119], s[14:15], v[4:5] op_sel:[0,0,1] op_sel_hi:[1,0,0] neg_lo:[0,0,1] neg_hi:[0,0,1]
	v_mov_b32_e32 v4, v6
	v_mov_b32_e32 v5, v137
	v_pk_add_f32 v[2:3], v[4:5], v[2:3]
	v_pk_mul_f32 v[4:5], v[116:117], s[40:41] op_sel_hi:[1,0]
	v_mov_b32_e32 v195, v7
	v_pk_fma_f32 v[6:7], v[114:115], s[12:13], v[4:5] op_sel:[0,0,1] op_sel_hi:[1,0,0]
	v_pk_fma_f32 v[140:141], v[114:115], s[12:13], v[4:5] op_sel:[0,0,1] op_sel_hi:[1,0,0] neg_lo:[0,0,1] neg_hi:[0,0,1]
	;; [unrolled: 7-line block ×7, first 2 shown]
	v_mov_b32_e32 v2, v4
	v_mov_b32_e32 v107, v5
	v_pk_mul_f32 v[4:5], v[124:125], s[50:51] op_sel_hi:[1,0]
	v_mov_b32_e32 v3, v7
	v_pk_fma_f32 v[242:243], v[122:123], s[24:25], v[4:5] op_sel:[0,0,1] op_sel_hi:[1,0,0]
	v_pk_fma_f32 v[14:15], v[122:123], s[24:25], v[4:5] op_sel:[0,0,1] op_sel_hi:[1,0,0] neg_lo:[0,0,1] neg_hi:[0,0,1]
	v_pk_add_f32 v[2:3], v[144:145], v[2:3]
	v_mov_b32_e32 v4, v242
	v_mov_b32_e32 v5, v15
	v_pk_add_f32 v[2:3], v[4:5], v[2:3]
	v_pk_mul_f32 v[4:5], v[120:121], s[42:43] op_sel_hi:[1,0]
	v_pk_mul_f32 v[200:201], v[124:125], s[46:47] op_sel_hi:[1,0]
	v_pk_fma_f32 v[238:239], v[118:119], s[0:1], v[4:5] op_sel:[0,0,1] op_sel_hi:[1,0,0]
	v_pk_fma_f32 v[18:19], v[118:119], s[0:1], v[4:5] op_sel:[0,0,1] op_sel_hi:[1,0,0] neg_lo:[0,0,1] neg_hi:[0,0,1]
	v_mov_b32_e32 v4, v238
	v_mov_b32_e32 v5, v19
	v_pk_add_f32 v[2:3], v[4:5], v[2:3]
	v_pk_mul_f32 v[4:5], v[116:117], s[44:45] op_sel_hi:[1,0]
	v_pk_fma_f32 v[204:205], v[122:123], s[14:15], v[200:201] op_sel:[0,0,1] op_sel_hi:[1,0,0]
	v_pk_fma_f32 v[246:247], v[114:115], s[8:9], v[4:5] op_sel:[0,0,1] op_sel_hi:[1,0,0]
	v_pk_fma_f32 v[248:249], v[114:115], s[8:9], v[4:5] op_sel:[0,0,1] op_sel_hi:[1,0,0] neg_lo:[0,0,1] neg_hi:[0,0,1]
	v_mov_b32_e32 v4, v246
	v_mov_b32_e32 v5, v249
	v_pk_add_f32 v[2:3], v[4:5], v[2:3]
	v_pk_mul_f32 v[4:5], v[230:231], s[34:35] op_sel_hi:[1,0]
	v_pk_fma_f32 v[200:201], v[122:123], s[14:15], v[200:201] op_sel:[0,0,1] op_sel_hi:[1,0,0] neg_lo:[0,0,1] neg_hi:[0,0,1]
	v_pk_fma_f32 v[234:235], v[228:229], s[30:31], v[4:5] op_sel:[0,0,1] op_sel_hi:[1,0,0]
	v_pk_fma_f32 v[252:253], v[228:229], s[30:31], v[4:5] op_sel:[0,0,1] op_sel_hi:[1,0,0] neg_lo:[0,0,1] neg_hi:[0,0,1]
	v_mov_b32_e32 v4, v234
	v_mov_b32_e32 v5, v253
	v_pk_add_f32 v[2:3], v[4:5], v[2:3]
	v_pk_mul_f32 v[4:5], v[226:227], s[48:49] op_sel_hi:[1,0]
	v_mov_b32_e32 v208, v204
	v_pk_fma_f32 v[186:187], v[224:225], s[10:11], v[4:5] op_sel:[0,0,1] op_sel_hi:[1,0,0]
	v_pk_fma_f32 v[254:255], v[224:225], s[10:11], v[4:5] op_sel:[0,0,1] op_sel_hi:[1,0,0] neg_lo:[0,0,1] neg_hi:[0,0,1]
	v_mov_b32_e32 v4, v186
	v_mov_b32_e32 v5, v255
	v_pk_add_f32 v[4:5], v[4:5], v[2:3]
	v_pk_mul_f32 v[2:3], v[222:223], s[20:21] op_sel_hi:[1,0]
	v_mov_b32_e32 v209, v201
	v_pk_fma_f32 v[182:183], v[220:221], s[12:13], v[2:3] op_sel:[0,0,1] op_sel_hi:[1,0,0]
	v_pk_fma_f32 v[2:3], v[220:221], s[12:13], v[2:3] op_sel:[0,0,1] op_sel_hi:[1,0,0] neg_lo:[0,0,1] neg_hi:[0,0,1]
	v_mov_b32_e32 v12, v182
	v_mov_b32_e32 v13, v3
	v_pk_add_f32 v[168:169], v[12:13], v[4:5]
	v_pk_mul_f32 v[4:5], v[218:219], s[22:23] op_sel_hi:[1,0]
	v_pk_mul_f32 v[74:75], v[124:125], s[38:39] op_sel_hi:[1,0]
	v_pk_fma_f32 v[178:179], v[216:217], s[18:19], v[4:5] op_sel:[0,0,1] op_sel_hi:[1,0,0]
	v_pk_fma_f32 v[4:5], v[216:217], s[18:19], v[4:5] op_sel:[0,0,1] op_sel_hi:[1,0,0] neg_lo:[0,0,1] neg_hi:[0,0,1]
	v_mov_b32_e32 v196, v178
	v_mov_b32_e32 v197, v5
	v_pk_add_f32 v[168:169], v[196:197], v[168:169]
	ds_write2_b64 v193, v[166:167], v[168:169] offset0:4 offset1:5
	v_pk_mul_f32 v[166:167], v[128:129], s[22:23] op_sel_hi:[1,0]
	v_pk_fma_f32 v[50:51], v[122:123], s[8:9], v[74:75] op_sel:[0,0,1] op_sel_hi:[1,0,0]
	v_pk_fma_f32 v[174:175], v[126:127], s[18:19], v[166:167] op_sel:[0,0,1] op_sel_hi:[1,0,0]
	v_pk_fma_f32 v[166:167], v[126:127], s[18:19], v[166:167] op_sel:[0,0,1] op_sel_hi:[1,0,0] neg_lo:[0,0,1] neg_hi:[0,0,1]
	v_mov_b32_e32 v196, v174
	v_mov_b32_e32 v197, v167
	v_pk_add_f32 v[196:197], v[144:145], v[196:197]
	v_pk_fma_f32 v[74:75], v[122:123], s[8:9], v[74:75] op_sel:[0,0,1] op_sel_hi:[1,0,0] neg_lo:[0,0,1] neg_hi:[0,0,1]
	v_pk_add_f32 v[196:197], v[208:209], v[196:197]
	v_pk_mul_f32 v[208:209], v[120:121], s[20:21] op_sel_hi:[1,0]
	v_mov_b32_e32 v48, v50
	v_pk_fma_f32 v[212:213], v[118:119], s[12:13], v[208:209] op_sel:[0,0,1] op_sel_hi:[1,0,0]
	v_pk_fma_f32 v[208:209], v[118:119], s[12:13], v[208:209] op_sel:[0,0,1] op_sel_hi:[1,0,0] neg_lo:[0,0,1] neg_hi:[0,0,1]
	v_mov_b32_e32 v250, v212
	v_mov_b32_e32 v251, v209
	v_pk_add_f32 v[196:197], v[250:251], v[196:197]
	v_pk_mul_f32 v[250:251], v[116:117], s[26:27] op_sel_hi:[1,0]
	v_mov_b32_e32 v49, v75
	v_pk_fma_f32 v[170:171], v[114:115], s[24:25], v[250:251] op_sel:[0,0,1] op_sel_hi:[1,0,0]
	v_pk_fma_f32 v[250:251], v[114:115], s[24:25], v[250:251] op_sel:[0,0,1] op_sel_hi:[1,0,0] neg_lo:[0,0,1] neg_hi:[0,0,1]
	v_mov_b32_e32 v12, v170
	v_mov_b32_e32 v13, v251
	;; [unrolled: 7-line block ×4, first 2 shown]
	v_pk_add_f32 v[12:13], v[20:21], v[12:13]
	v_pk_mul_f32 v[20:21], v[222:223], s[34:35] op_sel_hi:[1,0]
	v_pk_mul_f32 v[124:125], v[124:125], s[40:41] op_sel_hi:[1,0]
	v_pk_fma_f32 v[156:157], v[220:221], s[30:31], v[20:21] op_sel:[0,0,1] op_sel_hi:[1,0,0]
	v_pk_fma_f32 v[20:21], v[220:221], s[30:31], v[20:21] op_sel:[0,0,1] op_sel_hi:[1,0,0] neg_lo:[0,0,1] neg_hi:[0,0,1]
	v_mov_b32_e32 v44, v156
	v_mov_b32_e32 v45, v21
	v_pk_add_f32 v[12:13], v[44:45], v[12:13]
	v_pk_mul_f32 v[44:45], v[218:219], s[38:39] op_sel_hi:[1,0]
	v_mov_b32_e32 v7, v107
	v_pk_fma_f32 v[152:153], v[216:217], s[8:9], v[44:45] op_sel:[0,0,1] op_sel_hi:[1,0,0]
	v_pk_fma_f32 v[44:45], v[216:217], s[8:9], v[44:45] op_sel:[0,0,1] op_sel_hi:[1,0,0] neg_lo:[0,0,1] neg_hi:[0,0,1]
	v_mov_b32_e32 v46, v152
	v_mov_b32_e32 v47, v45
	v_pk_add_f32 v[12:13], v[46:47], v[12:13]
	v_pk_mul_f32 v[46:47], v[128:129], s[26:27] op_sel_hi:[1,0]
	v_pk_add_f32 v[6:7], v[144:145], v[6:7]
	v_pk_fma_f32 v[56:57], v[126:127], s[24:25], v[46:47] op_sel:[0,0,1] op_sel_hi:[1,0,0]
	v_pk_fma_f32 v[46:47], v[126:127], s[24:25], v[46:47] op_sel:[0,0,1] op_sel_hi:[1,0,0] neg_lo:[0,0,1] neg_hi:[0,0,1]
	v_mov_b32_e32 v22, v56
	v_mov_b32_e32 v23, v47
	v_pk_add_f32 v[22:23], v[144:145], v[22:23]
	v_mov_b32_e32 v47, v57
	v_pk_add_f32 v[22:23], v[48:49], v[22:23]
	v_pk_mul_f32 v[48:49], v[120:121], s[28:29] op_sel_hi:[1,0]
	v_pk_mul_f32 v[120:121], v[120:121], s[26:27] op_sel_hi:[1,0]
	v_pk_fma_f32 v[130:131], v[118:119], s[10:11], v[48:49] op_sel:[0,0,1] op_sel_hi:[1,0,0]
	v_pk_fma_f32 v[48:49], v[118:119], s[10:11], v[48:49] op_sel:[0,0,1] op_sel_hi:[1,0,0] neg_lo:[0,0,1] neg_hi:[0,0,1]
	v_mov_b32_e32 v164, v130
	v_mov_b32_e32 v165, v49
	v_pk_add_f32 v[22:23], v[164:165], v[22:23]
	v_pk_mul_f32 v[164:165], v[116:117], s[52:53] op_sel_hi:[1,0]
	v_pk_mul_f32 v[116:117], v[116:117], s[42:43] op_sel_hi:[1,0]
	v_pk_fma_f32 v[150:151], v[114:115], s[18:19], v[164:165] op_sel:[0,0,1] op_sel_hi:[1,0,0]
	v_pk_fma_f32 v[164:165], v[114:115], s[18:19], v[164:165] op_sel:[0,0,1] op_sel_hi:[1,0,0] neg_lo:[0,0,1] neg_hi:[0,0,1]
	v_mov_b32_e32 v96, v150
	v_mov_b32_e32 v97, v165
	v_pk_add_f32 v[22:23], v[96:97], v[22:23]
	v_pk_mul_f32 v[96:97], v[230:231], s[20:21] op_sel_hi:[1,0]
	v_mov_b32_e32 v15, v243
	v_pk_fma_f32 v[112:113], v[228:229], s[12:13], v[96:97] op_sel:[0,0,1] op_sel_hi:[1,0,0]
	v_pk_fma_f32 v[96:97], v[228:229], s[12:13], v[96:97] op_sel:[0,0,1] op_sel_hi:[1,0,0] neg_lo:[0,0,1] neg_hi:[0,0,1]
	v_mov_b32_e32 v154, v112
	v_mov_b32_e32 v155, v97
	v_pk_add_f32 v[22:23], v[154:155], v[22:23]
	v_pk_mul_f32 v[154:155], v[226:227], s[34:35] op_sel_hi:[1,0]
	v_pk_mul_f32 v[226:227], v[226:227], s[38:39] op_sel_hi:[1,0]
	v_pk_fma_f32 v[158:159], v[224:225], s[30:31], v[154:155] op_sel:[0,0,1] op_sel_hi:[1,0,0]
	v_pk_fma_f32 v[154:155], v[224:225], s[30:31], v[154:155] op_sel:[0,0,1] op_sel_hi:[1,0,0] neg_lo:[0,0,1] neg_hi:[0,0,1]
	v_mov_b32_e32 v108, v158
	v_mov_b32_e32 v109, v155
	v_pk_add_f32 v[22:23], v[108:109], v[22:23]
	v_pk_mul_f32 v[108:109], v[222:223], s[42:43] op_sel_hi:[1,0]
	v_pk_mul_f32 v[222:223], v[222:223], s[16:17] op_sel_hi:[1,0]
	v_pk_fma_f32 v[104:105], v[220:221], s[0:1], v[108:109] op_sel:[0,0,1] op_sel_hi:[1,0,0]
	v_pk_fma_f32 v[108:109], v[220:221], s[0:1], v[108:109] op_sel:[0,0,1] op_sel_hi:[1,0,0] neg_lo:[0,0,1] neg_hi:[0,0,1]
	v_mov_b32_e32 v58, v104
	v_mov_b32_e32 v59, v109
	v_pk_add_f32 v[22:23], v[58:59], v[22:23]
	v_pk_mul_f32 v[58:59], v[218:219], s[16:17] op_sel_hi:[1,0]
	v_pk_mul_f32 v[218:219], v[218:219], s[48:49] op_sel_hi:[1,0]
	v_pk_fma_f32 v[98:99], v[216:217], s[14:15], v[58:59] op_sel:[0,0,1] op_sel_hi:[1,0,0]
	v_pk_fma_f32 v[58:59], v[216:217], s[14:15], v[58:59] op_sel:[0,0,1] op_sel_hi:[1,0,0] neg_lo:[0,0,1] neg_hi:[0,0,1]
	v_mov_b32_e32 v172, v98
	v_mov_b32_e32 v173, v59
	v_pk_add_f32 v[22:23], v[172:173], v[22:23]
	ds_write2_b64 v193, v[12:13], v[22:23] offset0:6 offset1:7
	v_pk_mul_f32 v[12:13], v[128:129], s[34:35] op_sel_hi:[1,0]
	v_mov_b32_e32 v75, v51
	v_pk_fma_f32 v[22:23], v[126:127], s[30:31], v[12:13] op_sel:[0,0,1] op_sel_hi:[1,0,0]
	v_pk_fma_f32 v[12:13], v[126:127], s[30:31], v[12:13] op_sel:[0,0,1] op_sel_hi:[1,0,0] neg_lo:[0,0,1] neg_hi:[0,0,1]
	v_pk_fma_f32 v[126:127], v[122:123], s[12:13], v[124:125] op_sel:[0,0,1] op_sel_hi:[1,0,0]
	v_pk_fma_f32 v[122:123], v[122:123], s[12:13], v[124:125] op_sel:[0,0,1] op_sel_hi:[1,0,0] neg_lo:[0,0,1] neg_hi:[0,0,1]
	v_mov_b32_e32 v124, v22
	v_mov_b32_e32 v125, v13
	v_pk_add_f32 v[124:125], v[144:145], v[124:125]
	v_mov_b32_e32 v128, v126
	v_mov_b32_e32 v129, v123
	v_pk_add_f32 v[124:125], v[128:129], v[124:125]
	v_pk_fma_f32 v[128:129], v[118:119], s[24:25], v[120:121] op_sel:[0,0,1] op_sel_hi:[1,0,0]
	v_pk_fma_f32 v[118:119], v[118:119], s[24:25], v[120:121] op_sel:[0,0,1] op_sel_hi:[1,0,0] neg_lo:[0,0,1] neg_hi:[0,0,1]
	v_mov_b32_e32 v120, v128
	v_mov_b32_e32 v121, v119
	v_pk_add_f32 v[120:121], v[120:121], v[124:125]
	v_pk_fma_f32 v[124:125], v[114:115], s[0:1], v[116:117] op_sel:[0,0,1] op_sel_hi:[1,0,0]
	v_pk_fma_f32 v[114:115], v[114:115], s[0:1], v[116:117] op_sel:[0,0,1] op_sel_hi:[1,0,0] neg_lo:[0,0,1] neg_hi:[0,0,1]
	v_mov_b32_e32 v116, v124
	v_mov_b32_e32 v117, v115
	v_pk_add_f32 v[116:117], v[116:117], v[120:121]
	v_pk_mul_f32 v[120:121], v[230:231], s[22:23] op_sel_hi:[1,0]
	v_mov_b32_e32 v13, v23
	v_pk_fma_f32 v[172:173], v[228:229], s[18:19], v[120:121] op_sel:[0,0,1] op_sel_hi:[1,0,0]
	v_pk_fma_f32 v[120:121], v[228:229], s[18:19], v[120:121] op_sel:[0,0,1] op_sel_hi:[1,0,0] neg_lo:[0,0,1] neg_hi:[0,0,1]
	v_mov_b32_e32 v228, v172
	v_mov_b32_e32 v229, v121
	;; [unrolled: 1-line block ×3, first 2 shown]
	v_pk_add_f32 v[12:13], v[144:145], v[12:13]
	v_pk_add_f32 v[116:117], v[228:229], v[116:117]
	v_pk_fma_f32 v[228:229], v[224:225], s[8:9], v[226:227] op_sel:[0,0,1] op_sel_hi:[1,0,0]
	v_pk_fma_f32 v[224:225], v[224:225], s[8:9], v[226:227] op_sel:[0,0,1] op_sel_hi:[1,0,0] neg_lo:[0,0,1] neg_hi:[0,0,1]
	v_pk_add_f32 v[12:13], v[122:123], v[12:13]
	v_mov_b32_e32 v119, v129
	v_mov_b32_e32 v226, v228
	v_mov_b32_e32 v227, v225
	v_pk_add_f32 v[12:13], v[118:119], v[12:13]
	v_mov_b32_e32 v115, v125
	v_pk_add_f32 v[116:117], v[226:227], v[116:117]
	v_pk_fma_f32 v[226:227], v[220:221], s[14:15], v[222:223] op_sel:[0,0,1] op_sel_hi:[1,0,0]
	v_pk_fma_f32 v[220:221], v[220:221], s[14:15], v[222:223] op_sel:[0,0,1] op_sel_hi:[1,0,0] neg_lo:[0,0,1] neg_hi:[0,0,1]
	v_pk_add_f32 v[12:13], v[114:115], v[12:13]
	v_mov_b32_e32 v121, v173
	v_mov_b32_e32 v222, v226
	v_mov_b32_e32 v223, v221
	v_pk_add_f32 v[12:13], v[120:121], v[12:13]
	v_mov_b32_e32 v225, v229
	;; [unrolled: 9-line block ×3, first 2 shown]
	v_pk_add_f32 v[116:117], v[218:219], v[116:117]
	v_pk_add_f32 v[12:13], v[216:217], v[12:13]
	ds_write2_b64 v193, v[116:117], v[12:13] offset0:8 offset1:9
	v_pk_add_f32 v[12:13], v[144:145], v[46:47]
	v_pk_add_f32 v[6:7], v[14:15], v[6:7]
	v_mov_b32_e32 v19, v239
	v_pk_add_f32 v[12:13], v[74:75], v[12:13]
	v_mov_b32_e32 v49, v131
	;; [unrolled: 2-line block ×9, first 2 shown]
	v_mov_b32_e32 v97, v5
	v_pk_add_f32 v[2:3], v[2:3], v[6:7]
	v_mov_b32_e32 v5, v179
	v_mov_b32_e32 v107, v111
	v_pk_add_f32 v[2:3], v[4:5], v[2:3]
	v_pk_add_f32 v[4:5], v[144:145], v[106:107]
	v_mov_b32_e32 v133, v191
	v_pk_add_f32 v[4:5], v[132:133], v[4:5]
	v_mov_b32_e32 v137, v195
	;; [unrolled: 2-line block ×8, first 2 shown]
	v_mov_b32_e32 v199, v73
	v_mov_b32_e32 v73, v95
	ds_write2_b64 v193, v[2:3], v[4:5] offset0:12 offset1:13
	v_pk_add_f32 v[2:3], v[144:145], v[110:111]
	v_mov_b32_e32 v191, v67
	v_mov_b32_e32 v203, v163
	v_pk_add_f32 v[4:5], v[144:145], v[72:73]
	v_mov_b32_e32 v163, v101
	v_pk_add_f32 v[2:3], v[190:191], v[2:3]
	;; [unrolled: 2-line block ×4, first 2 shown]
	v_pk_add_f32 v[4:5], v[68:69], v[4:5]
	v_mov_b32_e32 v67, v135
	v_pk_add_f32 v[2:3], v[198:199], v[2:3]
	v_pk_add_f32 v[4:5], v[66:67], v[4:5]
	v_mov_b32_e32 v65, v139
	v_pk_add_f32 v[2:3], v[202:203], v[2:3]
	v_mov_b32_e32 v207, v181
	;; [unrolled: 2-line block ×7, first 2 shown]
	v_mov_b32_e32 v167, v175
	v_pk_add_f32 v[2:3], v[214:215], v[2:3]
	v_pk_add_f32 v[4:5], v[188:189], v[4:5]
	v_accvgpr_read_b32 v149, a1
	v_pk_add_f32 v[22:23], v[144:145], v[166:167]
	v_mov_b32_e32 v201, v205
	ds_write2_b64 v193, v[2:3], v[4:5] offset0:14 offset1:15
	v_pk_add_f32 v[2:3], v[144:145], v[148:149]
	v_accvgpr_read_b32 v143, a41
	v_pk_add_f32 v[22:23], v[200:201], v[22:23]
	v_mov_b32_e32 v209, v213
	v_pk_add_f32 v[2:3], v[142:143], v[2:3]
	v_accvgpr_read_b32 v139, a43
	v_pk_add_f32 v[22:23], v[208:209], v[22:23]
	v_mov_b32_e32 v251, v171
	;; [unrolled: 4-line block ×3, first 2 shown]
	v_pk_add_f32 v[2:3], v[134:135], v[2:3]
	v_accvgpr_read_b32 v103, a47
	v_mov_b32_e32 v155, v159
	v_pk_add_f32 v[22:23], v[196:197], v[22:23]
	v_mov_b32_e32 v17, v161
	v_pk_add_f32 v[2:3], v[102:103], v[2:3]
	v_accvgpr_read_b32 v147, a49
	v_pk_add_f32 v[12:13], v[154:155], v[12:13]
	v_mov_b32_e32 v109, v105
	v_pk_add_f32 v[16:17], v[16:17], v[22:23]
	v_mov_b32_e32 v21, v157
	v_pk_add_f32 v[2:3], v[146:147], v[2:3]
	v_accvgpr_read_b32 v101, a51
	v_pk_add_f32 v[12:13], v[108:109], v[12:13]
	;; [unrolled: 6-line block ×3, first 2 shown]
	v_pk_add_f32 v[16:17], v[44:45], v[16:17]
	v_pk_add_f32 v[2:3], v[94:95], v[2:3]
	ds_write2_b64 v193, v[12:13], v[16:17] offset0:10 offset1:11
	ds_write_b64 v193, v[2:3] offset:128
.LBB0_13:
	s_or_b64 exec, exec, s[56:57]
	s_waitcnt lgkmcnt(0)
	s_barrier
	ds_read2_b64 v[2:5], v192 offset0:102 offset1:119
	ds_read2_b64 v[12:15], v192 offset1:17
	ds_read2_b64 v[16:19], v192 offset0:238 offset1:255
	v_accvgpr_read_b32 v94, a28
	v_mad_u64_u32 v[66:67], s[0:1], s6, v94, 0
	s_waitcnt lgkmcnt(2)
	v_pk_mul_f32 v[6:7], v[8:9], v[4:5]
	s_mov_b32 s0, 0x3f5db3d7
	v_pk_fma_f32 v[20:21], v[0:1], v[4:5], v[6:7] op_sel:[0,0,1] op_sel_hi:[1,1,0]
	v_pk_fma_f32 v[4:5], v[0:1], v[4:5], v[6:7] op_sel:[0,0,1] op_sel_hi:[1,1,0] neg_lo:[0,0,1] neg_hi:[0,0,1]
	s_mov_b32 s8, 0x3f08b237
	v_mov_b32_e32 v21, v5
	s_waitcnt lgkmcnt(0)
	v_pk_mul_f32 v[4:5], v[10:11], v[16:17]
	s_mov_b32 s14, 0x3d64c772
	v_pk_fma_f32 v[6:7], v[70:71], v[16:17], v[4:5] op_sel:[0,0,1] op_sel_hi:[1,1,0]
	v_pk_fma_f32 v[4:5], v[70:71], v[16:17], v[4:5] op_sel:[0,0,1] op_sel_hi:[1,1,0] neg_lo:[0,0,1] neg_hi:[0,0,1]
	s_mov_b32 s9, 0xbeae86e6
	v_mov_b32_e32 v7, v5
	v_pk_add_f32 v[4:5], v[12:13], v[20:21]
	v_pk_add_f32 v[16:17], v[20:21], v[6:7] neg_lo:[0,1] neg_hi:[0,1]
	v_pk_add_f32 v[22:23], v[4:5], v[6:7]
	v_pk_add_f32 v[4:5], v[20:21], v[6:7]
	v_pk_mul_f32 v[16:17], v[16:17], s[0:1] op_sel_hi:[1,0]
	v_pk_fma_f32 v[12:13], v[4:5], 0.5, v[12:13] op_sel_hi:[1,0,1] neg_lo:[1,0,0] neg_hi:[1,0,0]
	ds_read2_b64 v[4:7], v192 offset0:204 offset1:221
	v_pk_add_f32 v[20:21], v[12:13], v[16:17] op_sel:[0,1] op_sel_hi:[1,0] neg_lo:[0,1] neg_hi:[0,1]
	v_pk_add_f32 v[12:13], v[12:13], v[16:17] op_sel:[0,1] op_sel_hi:[1,0]
	ds_read_b64 v[16:17], v192 offset:2720
	s_mov_b32 s15, 0x3f4a47b2
	s_waitcnt lgkmcnt(1)
	v_pk_mul_f32 v[36:37], v[36:37], v[6:7]
	v_mov_b32_e32 v64, s2
	v_pk_fma_f32 v[44:45], v[78:79], v[6:7], v[36:37] op_sel:[0,0,1] op_sel_hi:[1,1,0]
	v_pk_fma_f32 v[6:7], v[78:79], v[6:7], v[36:37] op_sel:[0,0,1] op_sel_hi:[1,1,0] neg_lo:[0,0,1] neg_hi:[0,0,1]
	v_mov_b32_e32 v65, s3
	v_mov_b32_e32 v45, v7
	s_waitcnt lgkmcnt(0)
	v_pk_mul_f32 v[6:7], v[38:39], v[16:17]
	ds_read2_b64 v[36:39], v192 offset0:68 offset1:85
	v_pk_fma_f32 v[46:47], v[80:81], v[16:17], v[6:7] op_sel:[0,0,1] op_sel_hi:[1,1,0]
	v_pk_fma_f32 v[6:7], v[80:81], v[16:17], v[6:7] op_sel:[0,0,1] op_sel_hi:[1,1,0] neg_lo:[0,0,1] neg_hi:[0,0,1]
	v_add_u32_e32 v16, 0x800, v192
	v_mov_b32_e32 v47, v7
	v_pk_add_f32 v[6:7], v[2:3], v[44:45]
	ds_read2_b64 v[78:81], v16 offset0:50 offset1:67
	v_pk_add_f32 v[48:49], v[6:7], v[46:47]
	v_pk_mul_f32 v[6:7], v[32:33], v[4:5]
	s_mov_b32 s2, s9
	v_pk_fma_f32 v[50:51], v[76:77], v[4:5], v[6:7] op_sel:[0,0,1] op_sel_hi:[1,1,0]
	v_pk_fma_f32 v[4:5], v[76:77], v[4:5], v[6:7] op_sel:[0,0,1] op_sel_hi:[1,1,0] neg_lo:[0,0,1] neg_hi:[0,0,1]
	s_waitcnt lgkmcnt(0)
	v_pk_mul_f32 v[32:33], v[34:35], v[80:81]
	v_mov_b32_e32 v51, v5
	ds_read2_b64 v[4:7], v192 offset0:170 offset1:187
	v_pk_fma_f32 v[56:57], v[176:177], v[80:81], v[32:33] op_sel:[0,0,1] op_sel_hi:[1,1,0]
	v_pk_fma_f32 v[32:33], v[176:177], v[80:81], v[32:33] op_sel:[0,0,1] op_sel_hi:[1,1,0] neg_lo:[0,0,1] neg_hi:[0,0,1]
	s_mov_b32 s3, s8
	v_mov_b32_e32 v57, v33
	s_waitcnt lgkmcnt(0)
	v_pk_mul_f32 v[28:29], v[28:29], v[6:7]
	v_pk_add_f32 v[32:33], v[38:39], v[50:51]
	v_pk_fma_f32 v[68:69], v[82:83], v[6:7], v[28:29] op_sel:[0,0,1] op_sel_hi:[1,1,0]
	v_pk_fma_f32 v[6:7], v[82:83], v[6:7], v[28:29] op_sel:[0,0,1] op_sel_hi:[1,1,0] neg_lo:[0,0,1] neg_hi:[0,0,1]
	v_pk_add_f32 v[58:59], v[32:33], v[56:57]
	v_mov_b32_e32 v69, v7
	v_pk_mul_f32 v[6:7], v[30:31], v[78:79]
	s_mov_b32 s16, s15
	v_pk_fma_f32 v[72:73], v[88:89], v[78:79], v[6:7] op_sel:[0,0,1] op_sel_hi:[1,1,0]
	v_pk_fma_f32 v[6:7], v[88:89], v[78:79], v[6:7] op_sel:[0,0,1] op_sel_hi:[1,1,0] neg_lo:[0,0,1] neg_hi:[0,0,1]
	s_mov_b32 s17, s14
	v_mov_b32_e32 v73, v7
	v_pk_add_f32 v[6:7], v[68:69], v[72:73]
	v_pk_add_f32 v[28:29], v[68:69], v[72:73] neg_lo:[0,1] neg_hi:[0,1]
	v_pk_fma_f32 v[6:7], v[6:7], 0.5, v[36:37] op_sel_hi:[1,0,1] neg_lo:[1,0,0] neg_hi:[1,0,0]
	v_pk_mul_f32 v[28:29], v[28:29], s[0:1] op_sel_hi:[1,0]
	s_mov_b32 s12, 0x3f955555
	v_pk_add_f32 v[74:75], v[6:7], v[28:29] op_sel:[0,1] op_sel_hi:[1,0]
	v_pk_add_f32 v[76:77], v[6:7], v[28:29] op_sel:[0,1] op_sel_hi:[1,0] neg_lo:[0,1] neg_hi:[0,1]
	ds_read2_b64 v[28:31], v192 offset0:34 offset1:51
	ds_read2_b64 v[32:35], v16 offset0:16 offset1:33
	v_pk_mul_f32 v[6:7], v[24:25], v[4:5]
	s_mov_b32 s6, 0xbf5ff5aa
	v_pk_fma_f32 v[24:25], v[86:87], v[4:5], v[6:7] op_sel:[0,0,1] op_sel_hi:[1,1,0]
	v_pk_fma_f32 v[4:5], v[86:87], v[4:5], v[6:7] op_sel:[0,0,1] op_sel_hi:[1,1,0] neg_lo:[0,0,1] neg_hi:[0,0,1]
	s_mov_b32 s10, 0x3f3bfb3b
	v_mov_b32_e32 v25, v5
	s_waitcnt lgkmcnt(0)
	v_pk_mul_f32 v[4:5], v[26:27], v[34:35]
	s_nop 0
	v_pk_fma_f32 v[26:27], v[92:93], v[34:35], v[4:5] op_sel:[0,0,1] op_sel_hi:[1,1,0]
	v_pk_fma_f32 v[4:5], v[92:93], v[34:35], v[4:5] op_sel:[0,0,1] op_sel_hi:[1,1,0] neg_lo:[0,0,1] neg_hi:[0,0,1]
	s_nop 0
	v_mov_b32_e32 v27, v5
	v_pk_add_f32 v[4:5], v[24:25], v[26:27]
	v_pk_add_f32 v[78:79], v[24:25], v[26:27] neg_lo:[0,1] neg_hi:[0,1]
	v_pk_fma_f32 v[34:35], v[4:5], 0.5, v[30:31] op_sel_hi:[1,0,1] neg_lo:[1,0,0] neg_hi:[1,0,0]
	ds_read2_b64 v[4:7], v192 offset0:136 offset1:153
	v_pk_mul_f32 v[78:79], v[78:79], s[0:1] op_sel_hi:[1,0]
	s_waitcnt lgkmcnt(0)
	v_pk_add_f32 v[80:81], v[34:35], v[78:79] op_sel:[0,1] op_sel_hi:[1,0]
	v_pk_add_f32 v[34:35], v[34:35], v[78:79] op_sel:[0,1] op_sel_hi:[1,0] neg_lo:[0,1] neg_hi:[0,1]
	v_pk_mul_f32 v[40:41], v[40:41], v[6:7]
	v_pk_mul_f32 v[8:9], v[8:9], v[4:5]
	v_pk_fma_f32 v[78:79], v[84:85], v[6:7], v[40:41] op_sel:[0,0,1] op_sel_hi:[1,1,0]
	v_pk_fma_f32 v[6:7], v[84:85], v[6:7], v[40:41] op_sel:[0,0,1] op_sel_hi:[1,1,0] neg_lo:[0,0,1] neg_hi:[0,0,1]
	s_barrier
	v_mov_b32_e32 v79, v7
	v_pk_mul_f32 v[6:7], v[42:43], v[32:33]
	s_nop 0
	v_pk_fma_f32 v[40:41], v[90:91], v[32:33], v[6:7] op_sel:[0,0,1] op_sel_hi:[1,1,0]
	v_pk_fma_f32 v[6:7], v[90:91], v[32:33], v[6:7] op_sel:[0,0,1] op_sel_hi:[1,1,0] neg_lo:[0,0,1] neg_hi:[0,0,1]
	s_nop 0
	v_mov_b32_e32 v41, v7
	v_pk_add_f32 v[6:7], v[78:79], v[40:41]
	v_pk_add_f32 v[32:33], v[78:79], v[40:41] neg_lo:[0,1] neg_hi:[0,1]
	v_pk_fma_f32 v[6:7], v[6:7], 0.5, v[28:29] op_sel_hi:[1,0,1] neg_lo:[1,0,0] neg_hi:[1,0,0]
	v_pk_mul_f32 v[32:33], v[32:33], s[0:1] op_sel_hi:[1,0]
	s_nop 0
	v_pk_add_f32 v[42:43], v[6:7], v[32:33] op_sel:[0,1] op_sel_hi:[1,0]
	v_pk_add_f32 v[6:7], v[6:7], v[32:33] op_sel:[0,1] op_sel_hi:[1,0] neg_lo:[0,1] neg_hi:[0,1]
	v_pk_fma_f32 v[32:33], v[0:1], v[4:5], v[8:9] op_sel:[0,0,1] op_sel_hi:[1,1,0]
	v_pk_fma_f32 v[0:1], v[0:1], v[4:5], v[8:9] op_sel:[0,0,1] op_sel_hi:[1,1,0] neg_lo:[0,0,1] neg_hi:[0,0,1]
	s_nop 0
	v_mov_b32_e32 v33, v1
	v_pk_mul_f32 v[0:1], v[10:11], v[18:19]
	s_nop 0
	v_pk_fma_f32 v[4:5], v[70:71], v[18:19], v[0:1] op_sel:[0,0,1] op_sel_hi:[1,1,0]
	v_pk_fma_f32 v[0:1], v[70:71], v[18:19], v[0:1] op_sel:[0,0,1] op_sel_hi:[1,1,0] neg_lo:[0,0,1] neg_hi:[0,0,1]
	s_nop 0
	v_mov_b32_e32 v5, v1
	v_pk_add_f32 v[0:1], v[32:33], v[4:5]
	v_pk_add_f32 v[8:9], v[32:33], v[4:5] neg_lo:[0,1] neg_hi:[0,1]
	v_pk_fma_f32 v[0:1], v[0:1], 0.5, v[14:15] op_sel_hi:[1,0,1] neg_lo:[1,0,0] neg_hi:[1,0,0]
	v_pk_mul_f32 v[8:9], v[8:9], s[0:1] op_sel_hi:[1,0]
	s_nop 0
	v_pk_add_f32 v[10:11], v[0:1], v[8:9] op_sel:[0,1] op_sel_hi:[1,0]
	v_pk_add_f32 v[0:1], v[0:1], v[8:9] op_sel:[0,1] op_sel_hi:[1,0] neg_lo:[0,1] neg_hi:[0,1]
	v_mov_b32_e32 v8, v20
	v_mov_b32_e32 v9, v13
	ds_write2_b64 v192, v[22:23], v[8:9] offset1:17
	v_pk_add_f32 v[8:9], v[14:15], v[32:33]
	v_mov_b32_e32 v13, v21
	v_pk_add_f32 v[4:5], v[8:9], v[4:5]
	ds_write2_b64 v192, v[12:13], v[4:5] offset0:34 offset1:51
	v_mov_b32_e32 v4, v0
	v_mov_b32_e32 v5, v11
	;; [unrolled: 1-line block ×3, first 2 shown]
	v_pk_add_f32 v[0:1], v[28:29], v[78:79]
	ds_write2_b64 v192, v[4:5], v[10:11] offset0:68 offset1:85
	v_pk_add_f32 v[0:1], v[0:1], v[40:41]
	v_mov_b32_e32 v4, v6
	v_mov_b32_e32 v5, v43
	v_accvgpr_read_b32 v6, a77
	ds_write2_b64 v6, v[0:1], v[4:5] offset0:102 offset1:119
	v_mov_b32_e32 v43, v7
	v_pk_add_f32 v[0:1], v[30:31], v[24:25]
	ds_write_b64 v6, v[42:43] offset:1088
	v_pk_add_f32 v[0:1], v[0:1], v[26:27]
	v_mov_b32_e32 v4, v34
	v_mov_b32_e32 v5, v81
	v_accvgpr_read_b32 v6, a76
	ds_write2_b64 v6, v[0:1], v[4:5] offset0:153 offset1:170
	v_mov_b32_e32 v81, v35
	v_pk_add_f32 v[0:1], v[36:37], v[68:69]
	ds_write_b64 v6, v[80:81] offset:1496
	v_pk_add_f32 v[0:1], v[0:1], v[72:73]
	v_mov_b32_e32 v4, v76
	v_mov_b32_e32 v5, v75
	v_accvgpr_read_b32 v6, a75
	ds_write2_b64 v6, v[0:1], v[4:5] offset0:204 offset1:221
	v_pk_add_f32 v[0:1], v[50:51], v[56:57]
	v_pk_add_f32 v[4:5], v[50:51], v[56:57] neg_lo:[0,1] neg_hi:[0,1]
	v_mov_b32_e32 v75, v77
	v_pk_fma_f32 v[0:1], v[0:1], 0.5, v[38:39] op_sel_hi:[1,0,1] neg_lo:[1,0,0] neg_hi:[1,0,0]
	v_pk_mul_f32 v[4:5], v[4:5], s[0:1] op_sel_hi:[1,0]
	ds_write_b64 v6, v[74:75] offset:1904
	v_pk_add_f32 v[6:7], v[0:1], v[4:5] op_sel:[0,1] op_sel_hi:[1,0] neg_lo:[0,1] neg_hi:[0,1]
	v_pk_add_f32 v[0:1], v[0:1], v[4:5] op_sel:[0,1] op_sel_hi:[1,0]
	v_mov_b32_e32 v4, v6
	v_accvgpr_read_b32 v6, a74
	v_mov_b32_e32 v5, v1
	v_add_u32_e32 v1, 0x400, v6
	ds_write2_b64 v1, v[58:59], v[4:5] offset0:127 offset1:144
	v_mov_b32_e32 v1, v7
	ds_write_b64 v6, v[0:1] offset:2312
	v_pk_add_f32 v[0:1], v[44:45], v[46:47]
	v_mov_b32_e32 v12, v61
	v_pk_fma_f32 v[0:1], v[0:1], 0.5, v[2:3] op_sel_hi:[1,0,1] neg_lo:[1,0,0] neg_hi:[1,0,0]
	v_pk_add_f32 v[2:3], v[44:45], v[46:47] neg_lo:[0,1] neg_hi:[0,1]
	v_accvgpr_read_b32 v76, a90
	v_pk_mul_f32 v[2:3], v[2:3], s[0:1] op_sel_hi:[1,0]
	v_accvgpr_read_b32 v77, a91
	v_pk_add_f32 v[4:5], v[0:1], v[2:3] op_sel:[0,1] op_sel_hi:[1,0] neg_lo:[0,1] neg_hi:[0,1]
	v_pk_add_f32 v[0:1], v[0:1], v[2:3] op_sel:[0,1] op_sel_hi:[1,0]
	v_mov_b32_e32 v2, v4
	v_accvgpr_read_b32 v4, a29
	v_mov_b32_e32 v3, v1
	v_add_u32_e32 v1, 0x800, v4
	ds_write2_b64 v1, v[48:49], v[2:3] offset0:50 offset1:67
	v_mov_b32_e32 v1, v5
	ds_write_b64 v4, v[0:1] offset:2720
	s_waitcnt lgkmcnt(0)
	s_barrier
	ds_read2_b64 v[0:3], v192 offset0:34 offset1:51
	ds_read2_b64 v[36:39], v192 offset0:102 offset1:119
	;; [unrolled: 1-line block ×7, first 2 shown]
	ds_read_b64 v[32:33], v192 offset:2720
	ds_read2_b64 v[4:7], v192 offset0:204 offset1:221
	s_waitcnt lgkmcnt(5)
	v_pk_mul_f32 v[20:21], v[12:13], v[26:27] op_sel:[0,1] op_sel_hi:[1,0]
	v_pk_mul_f32 v[12:13], v[60:61], v[26:27] op_sel:[0,1] op_sel_hi:[1,0]
	v_pk_mul_f32 v[18:19], v[60:61], v[26:27]
	v_mov_b32_e32 v12, v13
	v_pk_fma_f32 v[22:23], v[60:61], v[26:27], v[12:13] op_sel:[0,1,0] op_sel_hi:[1,0,1] neg_lo:[0,0,1] neg_hi:[0,0,1]
	ds_read2_b64 v[12:15], v192 offset0:170 offset1:187
	v_mov_b32_e32 v26, v63
	s_waitcnt lgkmcnt(1)
	v_pk_mul_f32 v[46:47], v[26:27], v[4:5] op_sel:[0,1] op_sel_hi:[1,0]
	v_pk_mul_f32 v[26:27], v[62:63], v[4:5] op_sel:[0,1] op_sel_hi:[1,0]
	v_pk_mul_f32 v[44:45], v[62:63], v[4:5]
	v_mov_b32_e32 v26, v27
	v_pk_fma_f32 v[48:49], v[62:63], v[4:5], v[26:27] op_sel:[0,1,0] op_sel_hi:[1,0,1] neg_lo:[0,0,1] neg_hi:[0,0,1]
	v_mov_b32_e32 v4, v53
	s_waitcnt lgkmcnt(0)
	v_pk_mul_f32 v[56:57], v[4:5], v[12:13] op_sel:[0,1] op_sel_hi:[1,0]
	v_pk_mul_f32 v[4:5], v[52:53], v[12:13] op_sel:[0,1] op_sel_hi:[1,0]
	v_pk_mul_f32 v[50:51], v[52:53], v[12:13]
	v_mov_b32_e32 v4, v5
	v_pk_fma_f32 v[58:59], v[52:53], v[12:13], v[4:5] op_sel:[0,1,0] op_sel_hi:[1,0,1] neg_lo:[0,0,1] neg_hi:[0,0,1]
	v_mov_b32_e32 v4, v55
	v_pk_mul_f32 v[62:63], v[4:5], v[6:7] op_sel:[0,1] op_sel_hi:[1,0]
	v_pk_mul_f32 v[4:5], v[54:55], v[6:7] op_sel:[0,1] op_sel_hi:[1,0]
	v_pk_mul_f32 v[60:61], v[54:55], v[6:7]
	v_mov_b32_e32 v4, v5
	v_pk_fma_f32 v[72:73], v[54:55], v[6:7], v[4:5] op_sel:[0,1,0] op_sel_hi:[1,0,1] neg_lo:[0,0,1] neg_hi:[0,0,1]
	v_accvgpr_read_b32 v52, a94
	v_accvgpr_read_b32 v53, a95
	;; [unrolled: 1-line block ×4, first 2 shown]
	v_pk_mul_f32 v[12:13], v[52:53], v[14:15] op_sel:[0,1] op_sel_hi:[1,0]
	v_mov_b32_e32 v6, v53
	v_mov_b32_e32 v12, v13
	v_pk_mul_f32 v[34:35], v[54:55], v[40:41] op_sel:[0,1] op_sel_hi:[1,0]
	v_pk_mul_f32 v[4:5], v[52:53], v[14:15]
	v_pk_mul_f32 v[6:7], v[6:7], v[14:15] op_sel:[0,1] op_sel_hi:[1,0]
	v_pk_fma_f32 v[26:27], v[52:53], v[14:15], v[12:13] op_sel:[0,1,0] op_sel_hi:[1,0,1] neg_lo:[0,0,1] neg_hi:[0,0,1]
	v_mov_b32_e32 v14, v55
	v_mov_b32_e32 v34, v35
	v_pk_mul_f32 v[74:75], v[76:77], v[2:3] op_sel_hi:[1,0]
	v_pk_mul_f32 v[12:13], v[54:55], v[40:41]
	v_pk_mul_f32 v[14:15], v[14:15], v[40:41] op_sel:[0,1] op_sel_hi:[1,0]
	v_pk_fma_f32 v[34:35], v[54:55], v[40:41], v[34:35] op_sel:[0,1,0] op_sel_hi:[1,0,1] neg_lo:[0,0,1] neg_hi:[0,0,1]
	v_mov_b32_e32 v40, v3
	v_accvgpr_read_b32 v78, a92
	v_accvgpr_read_b32 v79, a93
	v_pk_fma_f32 v[2:3], v[76:77], v[2:3], v[74:75] op_sel:[0,1,1] op_sel_hi:[1,1,0]
	v_pk_fma_f32 v[40:41], v[76:77], v[40:41], v[74:75] op_sel:[0,0,1] op_sel_hi:[1,1,0] neg_lo:[0,0,1] neg_hi:[0,0,1]
	v_mov_b32_e32 v2, v37
	v_pk_mul_f32 v[74:75], v[78:79], v[36:37] op_sel_hi:[1,0]
	v_mov_b32_e32 v41, v3
	v_pk_fma_f32 v[2:3], v[78:79], v[2:3], v[74:75] op_sel:[0,0,1] op_sel_hi:[1,1,0] neg_lo:[0,0,1] neg_hi:[0,0,1]
	v_pk_fma_f32 v[36:37], v[78:79], v[36:37], v[74:75] op_sel:[0,1,1] op_sel_hi:[1,1,0]
	v_accvgpr_read_b32 v76, a86
	v_accvgpr_read_b32 v77, a87
	v_pk_mul_f32 v[74:75], v[76:77], v[42:43] op_sel_hi:[1,0]
	v_mov_b32_e32 v36, v43
	v_accvgpr_read_b32 v78, a88
	v_accvgpr_read_b32 v79, a89
	v_pk_fma_f32 v[42:43], v[76:77], v[42:43], v[74:75] op_sel:[0,1,1] op_sel_hi:[1,1,0]
	v_mov_b32_e32 v3, v37
	v_pk_fma_f32 v[36:37], v[76:77], v[36:37], v[74:75] op_sel:[0,0,1] op_sel_hi:[1,1,0] neg_lo:[0,0,1] neg_hi:[0,0,1]
	v_mov_b32_e32 v42, v69
	v_pk_mul_f32 v[74:75], v[78:79], v[68:69] op_sel_hi:[1,0]
	v_mov_b32_e32 v37, v43
	v_pk_fma_f32 v[42:43], v[78:79], v[42:43], v[74:75] op_sel:[0,0,1] op_sel_hi:[1,1,0] neg_lo:[0,0,1] neg_hi:[0,0,1]
	v_pk_fma_f32 v[68:69], v[78:79], v[68:69], v[74:75] op_sel:[0,1,1] op_sel_hi:[1,1,0]
	v_mov_b32_e32 v45, v40
	v_mov_b32_e32 v43, v69
	;; [unrolled: 1-line block ×5, first 2 shown]
	v_pk_add_f32 v[68:69], v[40:41], v[42:43]
	v_pk_add_f32 v[74:75], v[40:41], v[42:43] neg_lo:[0,1] neg_hi:[0,1]
	v_pk_add_f32 v[76:77], v[2:3], v[36:37]
	v_pk_add_f32 v[78:79], v[2:3], v[36:37] neg_lo:[0,1] neg_hi:[0,1]
	v_pk_add_f32 v[40:41], v[44:45], v[46:47]
	v_pk_add_f32 v[2:3], v[18:19], v[20:21]
	ds_read2_b64 v[52:55], v192 offset1:17
	v_mov_b32_e32 v49, v40
	v_mov_b32_e32 v23, v2
	v_pk_add_f32 v[18:19], v[48:49], v[22:23] neg_lo:[0,1] neg_hi:[0,1]
	v_mov_b32_e32 v44, v77
	v_mov_b32_e32 v45, v22
	;; [unrolled: 1-line block ×8, first 2 shown]
	v_pk_add_f32 v[22:23], v[44:45], v[22:23]
	v_pk_add_f32 v[44:45], v[2:3], v[40:41]
	v_pk_add_f32 v[20:21], v[20:21], v[36:37] neg_lo:[0,1] neg_hi:[0,1]
	v_mov_b32_e32 v36, v74
	v_mov_b32_e32 v42, v18
	;; [unrolled: 1-line block ×9, first 2 shown]
	v_pk_add_f32 v[36:37], v[36:37], v[42:43] neg_lo:[0,1] neg_hi:[0,1]
	v_pk_add_f32 v[46:47], v[40:41], v[46:47] neg_lo:[0,1] neg_hi:[0,1]
	v_pk_add_f32 v[48:49], v[48:49], v[2:3] neg_lo:[0,1] neg_hi:[0,1]
	v_pk_add_f32 v[22:23], v[22:23], v[44:45]
	v_pk_mul_f32 v[20:21], v[20:21], s[8:9]
	v_pk_mul_f32 v[42:43], v[36:37], s[2:3]
	v_pk_add_f32 v[18:19], v[18:19], v[78:79]
	s_waitcnt lgkmcnt(0)
	v_pk_add_f32 v[44:45], v[52:53], v[22:23]
	v_pk_mul_f32 v[46:47], v[46:47], s[14:15]
	v_pk_mul_f32 v[52:53], v[48:49], s[16:17]
	v_mov_b32_e32 v2, v77
	v_mov_b32_e32 v40, v69
	v_pk_add_f32 v[18:19], v[18:19], v[74:75]
	v_pk_fma_f32 v[48:49], v[48:49], s[16:17], v[46:47]
	v_pk_fma_f32 v[36:37], v[36:37], s[2:3], v[20:21]
	v_pk_add_f32 v[74:75], v[78:79], v[74:75] neg_lo:[0,1] neg_hi:[0,1]
	v_pk_add_f32 v[2:3], v[2:3], v[40:41] neg_lo:[0,1] neg_hi:[0,1]
	v_mov_b32_e32 v40, v52
	v_mov_b32_e32 v41, v47
	;; [unrolled: 1-line block ×6, first 2 shown]
	s_mov_b32 s0, 0xbee1c552
	v_pk_fma_f32 v[22:23], v[22:23], s[12:13], v[44:45] op_sel_hi:[1,0,1] neg_lo:[1,0,0] neg_hi:[1,0,0]
	v_pk_fma_f32 v[40:41], v[2:3], s[10:11], v[40:41] op_sel_hi:[1,0,1] neg_lo:[1,0,1] neg_hi:[1,0,1]
	;; [unrolled: 1-line block ×5, first 2 shown]
	v_pk_fma_f32 v[36:37], v[18:19], s[0:1], v[36:37] op_sel_hi:[1,0,1]
	v_pk_fma_f32 v[68:69], v[18:19], s[0:1], v[68:69] op_sel_hi:[1,0,1]
	v_pk_add_f32 v[2:3], v[2:3], v[22:23]
	v_pk_fma_f32 v[18:19], v[18:19], s[0:1], v[20:21] op_sel_hi:[1,0,1]
	v_pk_add_f32 v[40:41], v[40:41], v[22:23]
	v_pk_add_f32 v[20:21], v[2:3], v[18:19] neg_lo:[0,1] neg_hi:[0,1]
	v_pk_add_f32 v[2:3], v[2:3], v[18:19]
	v_pk_add_f32 v[48:49], v[48:49], v[22:23]
	;; [unrolled: 1-line block ×3, first 2 shown]
	v_pk_add_f32 v[40:41], v[40:41], v[68:69] neg_lo:[0,1] neg_hi:[0,1]
	v_mov_b32_e32 v18, v20
	v_mov_b32_e32 v19, v3
	;; [unrolled: 1-line block ×3, first 2 shown]
	v_accvgpr_read_b32 v20, a82
	v_mov_b32_e32 v68, v76
	v_mov_b32_e32 v69, v41
	;; [unrolled: 1-line block ×3, first 2 shown]
	v_accvgpr_read_b32 v21, a83
	ds_write2_b64 v192, v[68:69], v[18:19] offset0:102 offset1:153
	ds_write2_b64 v192, v[2:3], v[40:41] offset0:204 offset1:255
	v_mov_b32_e32 v2, v29
	v_pk_mul_f32 v[18:19], v[20:21], v[28:29] op_sel_hi:[1,0]
	v_pk_add_f32 v[80:81], v[48:49], v[36:37]
	v_pk_add_f32 v[36:37], v[48:49], v[36:37] neg_lo:[0,1] neg_hi:[0,1]
	v_accvgpr_read_b32 v22, a84
	v_accvgpr_read_b32 v23, a85
	v_pk_fma_f32 v[2:3], v[20:21], v[2:3], v[18:19] op_sel:[0,0,1] op_sel_hi:[1,1,0] neg_lo:[0,0,1] neg_hi:[0,0,1]
	v_pk_fma_f32 v[18:19], v[20:21], v[28:29], v[18:19] op_sel:[0,1,1] op_sel_hi:[1,1,0]
	v_mov_b32_e32 v49, v37
	v_mov_b32_e32 v37, v81
	;; [unrolled: 1-line block ×3, first 2 shown]
	v_pk_mul_f32 v[20:21], v[22:23], v[38:39] op_sel_hi:[1,0]
	ds_write_b64 v192, v[36:37] offset:2448
	v_mov_b32_e32 v3, v19
	v_pk_fma_f32 v[18:19], v[22:23], v[18:19], v[20:21] op_sel:[0,0,1] op_sel_hi:[1,1,0] neg_lo:[0,0,1] neg_hi:[0,0,1]
	v_pk_fma_f32 v[20:21], v[22:23], v[38:39], v[20:21] op_sel:[0,1,1] op_sel_hi:[1,1,0]
	v_accvgpr_read_b32 v36, a78
	v_accvgpr_read_b32 v37, a79
	v_pk_mul_f32 v[22:23], v[36:37], v[8:9] op_sel_hi:[1,0]
	v_mov_b32_e32 v20, v9
	v_accvgpr_read_b32 v38, a80
	v_accvgpr_read_b32 v39, a81
	v_pk_fma_f32 v[8:9], v[36:37], v[8:9], v[22:23] op_sel:[0,1,1] op_sel_hi:[1,1,0]
	v_mov_b32_e32 v19, v21
	v_pk_fma_f32 v[20:21], v[36:37], v[20:21], v[22:23] op_sel:[0,0,1] op_sel_hi:[1,1,0] neg_lo:[0,0,1] neg_hi:[0,0,1]
	v_mov_b32_e32 v8, v71
	v_pk_mul_f32 v[22:23], v[38:39], v[70:71] op_sel_hi:[1,0]
	v_mov_b32_e32 v21, v9
	v_pk_fma_f32 v[8:9], v[38:39], v[8:9], v[22:23] op_sel:[0,0,1] op_sel_hi:[1,1,0] neg_lo:[0,0,1] neg_hi:[0,0,1]
	v_pk_fma_f32 v[22:23], v[38:39], v[70:71], v[22:23] op_sel:[0,1,1] op_sel_hi:[1,1,0]
	v_mov_b32_e32 v61, v2
	v_mov_b32_e32 v9, v23
	;; [unrolled: 1-line block ×5, first 2 shown]
	v_pk_add_f32 v[22:23], v[2:3], v[8:9]
	v_pk_add_f32 v[28:29], v[2:3], v[8:9] neg_lo:[0,1] neg_hi:[0,1]
	v_pk_add_f32 v[2:3], v[60:61], v[62:63]
	v_pk_add_f32 v[8:9], v[50:51], v[56:57]
	;; [unrolled: 1-line block ×3, first 2 shown]
	v_mov_b32_e32 v73, v2
	v_mov_b32_e32 v59, v8
	v_pk_add_f32 v[38:39], v[18:19], v[20:21] neg_lo:[0,1] neg_hi:[0,1]
	v_pk_add_f32 v[18:19], v[72:73], v[58:59] neg_lo:[0,1] neg_hi:[0,1]
	v_mov_b32_e32 v46, v37
	v_mov_b32_e32 v47, v58
	;; [unrolled: 1-line block ×8, first 2 shown]
	v_pk_add_f32 v[46:47], v[46:47], v[50:51]
	v_pk_add_f32 v[50:51], v[8:9], v[2:3]
	v_pk_add_f32 v[20:21], v[20:21], v[40:41] neg_lo:[0,1] neg_hi:[0,1]
	v_mov_b32_e32 v40, v28
	v_mov_b32_e32 v42, v18
	;; [unrolled: 1-line block ×9, first 2 shown]
	v_pk_add_f32 v[40:41], v[40:41], v[42:43] neg_lo:[0,1] neg_hi:[0,1]
	v_pk_add_f32 v[52:53], v[2:3], v[52:53] neg_lo:[0,1] neg_hi:[0,1]
	;; [unrolled: 1-line block ×3, first 2 shown]
	v_pk_add_f32 v[46:47], v[46:47], v[50:51]
	v_pk_mul_f32 v[20:21], v[20:21], s[8:9]
	v_pk_mul_f32 v[42:43], v[40:41], s[2:3]
	v_pk_add_f32 v[18:19], v[18:19], v[38:39]
	v_pk_add_f32 v[50:51], v[54:55], v[46:47]
	v_pk_mul_f32 v[52:53], v[52:53], s[14:15]
	v_pk_mul_f32 v[54:55], v[56:57], s[16:17]
	v_mov_b32_e32 v8, v37
	v_mov_b32_e32 v2, v23
	v_pk_add_f32 v[18:19], v[18:19], v[28:29]
	v_pk_fma_f32 v[56:57], v[56:57], s[16:17], v[52:53]
	v_pk_fma_f32 v[40:41], v[40:41], s[2:3], v[20:21]
	v_pk_add_f32 v[28:29], v[38:39], v[28:29] neg_lo:[0,1] neg_hi:[0,1]
	v_pk_add_f32 v[2:3], v[8:9], v[2:3] neg_lo:[0,1] neg_hi:[0,1]
	v_mov_b32_e32 v8, v54
	v_mov_b32_e32 v9, v53
	;; [unrolled: 1-line block ×6, first 2 shown]
	v_pk_fma_f32 v[46:47], v[46:47], s[12:13], v[50:51] op_sel_hi:[1,0,1] neg_lo:[1,0,0] neg_hi:[1,0,0]
	v_pk_fma_f32 v[8:9], v[2:3], s[10:11], v[8:9] op_sel_hi:[1,0,1] neg_lo:[1,0,1] neg_hi:[1,0,1]
	;; [unrolled: 1-line block ×5, first 2 shown]
	v_pk_fma_f32 v[40:41], v[18:19], s[0:1], v[40:41] op_sel_hi:[1,0,1]
	v_pk_fma_f32 v[22:23], v[18:19], s[0:1], v[22:23] op_sel_hi:[1,0,1]
	v_pk_add_f32 v[2:3], v[2:3], v[46:47]
	v_pk_fma_f32 v[18:19], v[18:19], s[0:1], v[20:21] op_sel_hi:[1,0,1]
	v_pk_add_f32 v[56:57], v[56:57], v[46:47]
	v_pk_add_f32 v[20:21], v[2:3], v[18:19] neg_lo:[0,1] neg_hi:[0,1]
	v_pk_add_f32 v[2:3], v[2:3], v[18:19]
	v_pk_add_f32 v[8:9], v[8:9], v[46:47]
	v_mov_b32_e32 v18, v20
	v_mov_b32_e32 v19, v3
	;; [unrolled: 1-line block ×3, first 2 shown]
	v_pk_add_f32 v[58:59], v[56:57], v[40:41]
	v_pk_add_f32 v[40:41], v[56:57], v[40:41] neg_lo:[0,1] neg_hi:[0,1]
	v_pk_add_f32 v[36:37], v[8:9], v[22:23]
	v_pk_add_f32 v[8:9], v[8:9], v[22:23] neg_lo:[0,1] neg_hi:[0,1]
	ds_write2_b64 v97, v[18:19], v[2:3] offset0:153 offset1:204
	v_accvgpr_read_b32 v18, a70
	ds_write2_b64 v192, v[44:45], v[50:51] offset1:17
	v_mov_b32_e32 v45, v41
	v_mov_b32_e32 v23, v9
	v_mov_b32_e32 v9, v37
	v_mov_b32_e32 v41, v59
	v_add_u32_e32 v2, 0x400, v97
	v_accvgpr_read_b32 v19, a71
	ds_write2_b64 v2, v[8:9], v[40:41] offset0:127 offset1:178
	v_mov_b32_e32 v2, v31
	v_pk_mul_f32 v[8:9], v[18:19], v[30:31] op_sel_hi:[1,0]
	v_accvgpr_read_b32 v20, a72
	v_accvgpr_read_b32 v21, a73
	v_pk_fma_f32 v[2:3], v[18:19], v[2:3], v[8:9] op_sel:[0,0,1] op_sel_hi:[1,1,0] neg_lo:[0,0,1] neg_hi:[0,0,1]
	v_pk_fma_f32 v[8:9], v[18:19], v[30:31], v[8:9] op_sel:[0,1,1] op_sel_hi:[1,1,0]
	v_mov_b32_e32 v44, v58
	v_mov_b32_e32 v22, v36
	;; [unrolled: 1-line block ×3, first 2 shown]
	v_pk_mul_f32 v[18:19], v[20:21], v[24:25] op_sel_hi:[1,0]
	ds_write2_b64 v97, v[44:45], v[22:23] offset0:51 offset1:102
	v_mov_b32_e32 v3, v9
	v_pk_fma_f32 v[8:9], v[20:21], v[8:9], v[18:19] op_sel:[0,0,1] op_sel_hi:[1,1,0] neg_lo:[0,0,1] neg_hi:[0,0,1]
	v_pk_fma_f32 v[18:19], v[20:21], v[24:25], v[18:19] op_sel:[0,1,1] op_sel_hi:[1,1,0]
	v_accvgpr_read_b32 v22, a66
	v_accvgpr_read_b32 v23, a67
	v_pk_mul_f32 v[20:21], v[22:23], v[10:11] op_sel_hi:[1,0]
	v_mov_b32_e32 v18, v11
	v_accvgpr_read_b32 v24, a68
	v_accvgpr_read_b32 v25, a69
	v_pk_fma_f32 v[10:11], v[22:23], v[10:11], v[20:21] op_sel:[0,1,1] op_sel_hi:[1,1,0]
	v_mov_b32_e32 v9, v19
	v_pk_fma_f32 v[18:19], v[22:23], v[18:19], v[20:21] op_sel:[0,0,1] op_sel_hi:[1,1,0] neg_lo:[0,0,1] neg_hi:[0,0,1]
	v_mov_b32_e32 v10, v33
	v_pk_mul_f32 v[20:21], v[24:25], v[32:33] op_sel_hi:[1,0]
	v_mov_b32_e32 v19, v11
	v_pk_fma_f32 v[10:11], v[24:25], v[10:11], v[20:21] op_sel:[0,0,1] op_sel_hi:[1,1,0] neg_lo:[0,0,1] neg_hi:[0,0,1]
	v_pk_fma_f32 v[20:21], v[24:25], v[32:33], v[20:21] op_sel:[0,1,1] op_sel_hi:[1,1,0]
	v_mov_b32_e32 v13, v2
	v_mov_b32_e32 v11, v21
	;; [unrolled: 1-line block ×5, first 2 shown]
	v_pk_add_f32 v[20:21], v[2:3], v[10:11]
	v_pk_add_f32 v[22:23], v[2:3], v[10:11] neg_lo:[0,1] neg_hi:[0,1]
	v_pk_add_f32 v[2:3], v[12:13], v[14:15]
	v_pk_add_f32 v[4:5], v[4:5], v[6:7]
	v_pk_add_f32 v[24:25], v[8:9], v[18:19]
	v_mov_b32_e32 v35, v2
	v_mov_b32_e32 v27, v4
	v_pk_add_f32 v[28:29], v[8:9], v[18:19] neg_lo:[0,1] neg_hi:[0,1]
	v_pk_add_f32 v[6:7], v[34:35], v[26:27] neg_lo:[0,1] neg_hi:[0,1]
	v_mov_b32_e32 v14, v25
	v_mov_b32_e32 v15, v26
	;; [unrolled: 1-line block ×8, first 2 shown]
	v_pk_add_f32 v[14:15], v[14:15], v[18:19]
	v_pk_add_f32 v[18:19], v[4:5], v[2:3]
	v_pk_add_f32 v[8:9], v[8:9], v[10:11] neg_lo:[0,1] neg_hi:[0,1]
	v_mov_b32_e32 v10, v22
	v_mov_b32_e32 v12, v6
	;; [unrolled: 1-line block ×9, first 2 shown]
	v_pk_add_f32 v[10:11], v[10:11], v[12:13] neg_lo:[0,1] neg_hi:[0,1]
	v_pk_add_f32 v[26:27], v[2:3], v[26:27] neg_lo:[0,1] neg_hi:[0,1]
	;; [unrolled: 1-line block ×3, first 2 shown]
	v_pk_mul_f32 v[8:9], v[8:9], s[8:9]
	v_pk_mul_f32 v[12:13], v[10:11], s[2:3]
	v_pk_add_f32 v[6:7], v[6:7], v[28:29]
	v_pk_add_f32 v[14:15], v[14:15], v[18:19]
	v_pk_mul_f32 v[18:19], v[26:27], s[14:15]
	v_pk_mul_f32 v[26:27], v[30:31], s[16:17]
	v_mov_b32_e32 v4, v25
	v_mov_b32_e32 v2, v21
	v_pk_add_f32 v[6:7], v[6:7], v[22:23]
	v_pk_add_f32 v[0:1], v[0:1], v[14:15]
	v_pk_add_f32 v[22:23], v[28:29], v[22:23] neg_lo:[0,1] neg_hi:[0,1]
	v_pk_add_f32 v[2:3], v[4:5], v[2:3] neg_lo:[0,1] neg_hi:[0,1]
	v_mov_b32_e32 v4, v26
	v_mov_b32_e32 v5, v19
	;; [unrolled: 1-line block ×4, first 2 shown]
	v_pk_fma_f32 v[14:15], v[14:15], s[12:13], v[0:1] op_sel_hi:[1,0,1] neg_lo:[1,0,0] neg_hi:[1,0,0]
	v_pk_fma_f32 v[30:31], v[30:31], s[16:17], v[18:19]
	v_pk_fma_f32 v[10:11], v[10:11], s[2:3], v[8:9]
	v_pk_fma_f32 v[4:5], v[2:3], s[10:11], v[4:5] op_sel_hi:[1,0,1] neg_lo:[1,0,1] neg_hi:[1,0,1]
	v_pk_fma_f32 v[20:21], v[22:23], s[6:7], v[20:21] op_sel_hi:[1,0,1] neg_lo:[1,0,1] neg_hi:[1,0,1]
	v_pk_add_f32 v[30:31], v[30:31], v[14:15]
	v_pk_fma_f32 v[10:11], v[6:7], s[0:1], v[10:11] op_sel_hi:[1,0,1]
	v_pk_add_f32 v[4:5], v[4:5], v[14:15]
	v_pk_fma_f32 v[20:21], v[6:7], s[0:1], v[20:21] op_sel_hi:[1,0,1]
	v_mov_b32_e32 v48, v80
	v_pk_add_f32 v[32:33], v[30:31], v[10:11]
	v_pk_add_f32 v[10:11], v[30:31], v[10:11] neg_lo:[0,1] neg_hi:[0,1]
	v_pk_add_f32 v[24:25], v[4:5], v[20:21]
	v_pk_add_f32 v[4:5], v[4:5], v[20:21] neg_lo:[0,1] neg_hi:[0,1]
	ds_write2_b64 v192, v[0:1], v[48:49] offset0:34 offset1:51
	v_mov_b32_e32 v0, v32
	v_mov_b32_e32 v1, v11
	;; [unrolled: 1-line block ×6, first 2 shown]
	ds_write2_b64 v96, v[0:1], v[20:21] offset0:51 offset1:102
	v_pk_fma_f32 v[0:1], v[2:3], s[10:11], v[18:19] op_sel_hi:[1,0,1] neg_lo:[0,0,1] neg_hi:[0,0,1]
	v_pk_fma_f32 v[2:3], v[22:23], s[6:7], v[8:9] op_sel_hi:[1,0,1] neg_lo:[0,0,1] neg_hi:[0,0,1]
	v_pk_add_f32 v[0:1], v[0:1], v[14:15]
	v_pk_fma_f32 v[2:3], v[6:7], s[0:1], v[2:3] op_sel_hi:[1,0,1]
	v_mov_b32_e32 v5, v25
	v_pk_add_f32 v[6:7], v[0:1], v[2:3] neg_lo:[0,1] neg_hi:[0,1]
	v_pk_add_f32 v[0:1], v[0:1], v[2:3]
	v_mov_b32_e32 v2, v6
	v_mov_b32_e32 v3, v1
	;; [unrolled: 1-line block ×3, first 2 shown]
	ds_write2_b64 v96, v[2:3], v[0:1] offset0:153 offset1:204
	v_mov_b32_e32 v11, v33
	v_add_u32_e32 v0, 0x400, v96
	ds_write2_b64 v0, v[4:5], v[10:11] offset0:127 offset1:178
	s_waitcnt lgkmcnt(0)
	s_barrier
	ds_read2_b64 v[0:3], v192 offset1:21
	v_mov_b32_e32 v4, v67
	v_accvgpr_read_b32 v6, a38
	v_mad_u64_u32 v[4:5], s[0:1], s7, v94, v[4:5]
	v_accvgpr_read_b32 v7, a39
	v_mov_b32_e32 v67, v4
	s_waitcnt lgkmcnt(0)
	v_mul_f32_e32 v4, v7, v1
	v_fmac_f32_e32 v4, v6, v0
	v_mul_f32_e32 v0, v7, v0
	s_mov_b32 s0, 0x16f26017
	v_fma_f32 v0, v6, v1, -v0
	v_cvt_f64_f32_e32 v[4:5], v4
	s_mov_b32 s1, 0x3f66f260
	v_cvt_f64_f32_e32 v[0:1], v0
	v_accvgpr_read_b32 v14, a0
	v_mul_f64 v[4:5], v[4:5], s[0:1]
	v_mul_f64 v[0:1], v[0:1], s[0:1]
	v_mad_u64_u32 v[6:7], s[2:3], s4, v14, 0
	v_cvt_f32_f64_e32 v4, v[4:5]
	v_cvt_f32_f64_e32 v5, v[0:1]
	v_mov_b32_e32 v0, v7
	v_mad_u64_u32 v[0:1], s[2:3], s5, v14, v[0:1]
	v_mov_b32_e32 v7, v0
	v_lshl_add_u64 v[0:1], v[66:67], 3, v[64:65]
	v_accvgpr_read_b32 v10, a36
	v_lshl_add_u64 v[6:7], v[6:7], 3, v[0:1]
	v_accvgpr_read_b32 v11, a37
	global_store_dwordx2 v[6:7], v[4:5], off
	v_mul_f32_e32 v4, v11, v3
	v_fmac_f32_e32 v4, v10, v2
	v_mul_f32_e32 v2, v11, v2
	v_fma_f32 v2, v10, v3, -v2
	v_cvt_f64_f32_e32 v[4:5], v4
	v_cvt_f64_f32_e32 v[2:3], v2
	v_mul_f64 v[4:5], v[4:5], s[0:1]
	v_mul_f64 v[2:3], v[2:3], s[0:1]
	v_cvt_f32_f64_e32 v8, v[4:5]
	v_cvt_f32_f64_e32 v9, v[2:3]
	ds_read2_b64 v[2:5], v192 offset0:42 offset1:63
	s_mul_i32 s2, s5, 21
	s_mul_hi_u32 s3, s4, 21
	s_add_i32 s3, s3, s2
	s_mul_i32 s2, s4, 21
	s_lshl_b64 s[2:3], s[2:3], 3
	v_accvgpr_read_b32 v10, a34
	v_lshl_add_u64 v[6:7], v[6:7], 0, s[2:3]
	v_accvgpr_read_b32 v11, a35
	global_store_dwordx2 v[6:7], v[8:9], off
	s_waitcnt lgkmcnt(0)
	v_mul_f32_e32 v8, v11, v3
	v_fmac_f32_e32 v8, v10, v2
	v_mul_f32_e32 v2, v11, v2
	v_fma_f32 v2, v10, v3, -v2
	v_cvt_f64_f32_e32 v[8:9], v8
	v_cvt_f64_f32_e32 v[2:3], v2
	v_accvgpr_read_b32 v10, a32
	v_mul_f64 v[8:9], v[8:9], s[0:1]
	v_mul_f64 v[2:3], v[2:3], s[0:1]
	v_accvgpr_read_b32 v11, a33
	v_cvt_f32_f64_e32 v8, v[8:9]
	v_cvt_f32_f64_e32 v9, v[2:3]
	v_mul_f32_e32 v2, v11, v5
	v_fmac_f32_e32 v2, v10, v4
	v_cvt_f64_f32_e32 v[2:3], v2
	v_lshl_add_u64 v[6:7], v[6:7], 0, s[2:3]
	v_mul_f64 v[2:3], v[2:3], s[0:1]
	global_store_dwordx2 v[6:7], v[8:9], off
	v_cvt_f32_f64_e32 v8, v[2:3]
	v_mul_f32_e32 v2, v11, v4
	v_fma_f32 v2, v10, v5, -v2
	v_cvt_f64_f32_e32 v[10:11], v2
	ds_read2_b64 v[2:5], v192 offset0:84 offset1:105
	v_mul_f64 v[10:11], v[10:11], s[0:1]
	v_cvt_f32_f64_e32 v9, v[10:11]
	v_accvgpr_read_b32 v10, a30
	v_lshl_add_u64 v[6:7], v[6:7], 0, s[2:3]
	v_accvgpr_read_b32 v11, a31
	global_store_dwordx2 v[6:7], v[8:9], off
	s_waitcnt lgkmcnt(0)
	v_mul_f32_e32 v8, v11, v3
	v_fmac_f32_e32 v8, v10, v2
	v_mul_f32_e32 v2, v11, v2
	v_fma_f32 v2, v10, v3, -v2
	v_cvt_f64_f32_e32 v[8:9], v8
	v_cvt_f64_f32_e32 v[2:3], v2
	v_accvgpr_read_b32 v10, a26
	v_mul_f64 v[8:9], v[8:9], s[0:1]
	v_mul_f64 v[2:3], v[2:3], s[0:1]
	v_accvgpr_read_b32 v11, a27
	v_cvt_f32_f64_e32 v8, v[8:9]
	v_cvt_f32_f64_e32 v9, v[2:3]
	v_mul_f32_e32 v2, v11, v5
	v_fmac_f32_e32 v2, v10, v4
	v_cvt_f64_f32_e32 v[2:3], v2
	v_lshl_add_u64 v[6:7], v[6:7], 0, s[2:3]
	v_mul_f64 v[2:3], v[2:3], s[0:1]
	global_store_dwordx2 v[6:7], v[8:9], off
	v_cvt_f32_f64_e32 v8, v[2:3]
	v_mul_f32_e32 v2, v11, v4
	v_fma_f32 v2, v10, v5, -v2
	v_cvt_f64_f32_e32 v[10:11], v2
	ds_read2_b64 v[2:5], v192 offset0:126 offset1:147
	v_mul_f64 v[10:11], v[10:11], s[0:1]
	v_cvt_f32_f64_e32 v9, v[10:11]
	;; [unrolled: 30-line block ×4, first 2 shown]
	v_accvgpr_read_b32 v10, a16
	v_lshl_add_u64 v[6:7], v[6:7], 0, s[2:3]
	v_accvgpr_read_b32 v11, a17
	global_store_dwordx2 v[6:7], v[8:9], off
	s_waitcnt lgkmcnt(0)
	v_mul_f32_e32 v8, v11, v3
	v_fmac_f32_e32 v8, v10, v2
	v_mul_f32_e32 v2, v11, v2
	v_fma_f32 v2, v10, v3, -v2
	v_cvt_f64_f32_e32 v[8:9], v8
	v_cvt_f64_f32_e32 v[2:3], v2
	v_accvgpr_read_b32 v10, a14
	v_mul_f64 v[8:9], v[8:9], s[0:1]
	v_mul_f64 v[2:3], v[2:3], s[0:1]
	v_accvgpr_read_b32 v11, a15
	v_cvt_f32_f64_e32 v8, v[8:9]
	v_cvt_f32_f64_e32 v9, v[2:3]
	v_mul_f32_e32 v2, v11, v5
	v_fmac_f32_e32 v2, v10, v4
	v_cvt_f64_f32_e32 v[2:3], v2
	v_lshl_add_u64 v[6:7], v[6:7], 0, s[2:3]
	v_mul_f64 v[2:3], v[2:3], s[0:1]
	global_store_dwordx2 v[6:7], v[8:9], off
	v_cvt_f32_f64_e32 v8, v[2:3]
	v_mul_f32_e32 v2, v11, v4
	v_fma_f32 v2, v10, v5, -v2
	v_cvt_f64_f32_e32 v[10:11], v2
	v_add_u32_e32 v2, 0x400, v192
	ds_read2_b64 v[2:5], v2 offset0:124 offset1:145
	v_mul_f64 v[10:11], v[10:11], s[0:1]
	v_cvt_f32_f64_e32 v9, v[10:11]
	v_accvgpr_read_b32 v10, a12
	v_lshl_add_u64 v[6:7], v[6:7], 0, s[2:3]
	v_accvgpr_read_b32 v11, a13
	global_store_dwordx2 v[6:7], v[8:9], off
	s_waitcnt lgkmcnt(0)
	v_mul_f32_e32 v8, v11, v3
	v_fmac_f32_e32 v8, v10, v2
	v_mul_f32_e32 v2, v11, v2
	v_fma_f32 v2, v10, v3, -v2
	v_cvt_f64_f32_e32 v[8:9], v8
	v_cvt_f64_f32_e32 v[2:3], v2
	v_accvgpr_read_b32 v10, a10
	v_mul_f64 v[8:9], v[8:9], s[0:1]
	v_mul_f64 v[2:3], v[2:3], s[0:1]
	v_accvgpr_read_b32 v11, a11
	v_cvt_f32_f64_e32 v8, v[8:9]
	v_cvt_f32_f64_e32 v9, v[2:3]
	v_mul_f32_e32 v2, v11, v5
	v_fmac_f32_e32 v2, v10, v4
	v_cvt_f64_f32_e32 v[2:3], v2
	v_lshl_add_u64 v[6:7], v[6:7], 0, s[2:3]
	v_mul_f64 v[2:3], v[2:3], s[0:1]
	global_store_dwordx2 v[6:7], v[8:9], off
	v_cvt_f32_f64_e32 v8, v[2:3]
	v_mul_f32_e32 v2, v11, v4
	v_fma_f32 v2, v10, v5, -v2
	v_cvt_f64_f32_e32 v[10:11], v2
	ds_read2_b64 v[2:5], v16 offset0:38 offset1:59
	v_mul_f64 v[10:11], v[10:11], s[0:1]
	v_cvt_f32_f64_e32 v9, v[10:11]
	v_lshl_add_u64 v[6:7], v[6:7], 0, s[2:3]
	v_accvgpr_read_b32 v11, a9
	global_store_dwordx2 v[6:7], v[8:9], off
	v_accvgpr_read_b32 v10, a8
	s_waitcnt lgkmcnt(0)
	v_mul_f32_e32 v8, v11, v3
	v_fmac_f32_e32 v8, v10, v2
	v_mul_f32_e32 v2, v11, v2
	v_fma_f32 v2, v10, v3, -v2
	v_cvt_f64_f32_e32 v[8:9], v8
	v_cvt_f64_f32_e32 v[2:3], v2
	v_mul_f64 v[8:9], v[8:9], s[0:1]
	v_mul_f64 v[2:3], v[2:3], s[0:1]
	v_cvt_f32_f64_e32 v8, v[8:9]
	v_cvt_f32_f64_e32 v9, v[2:3]
	v_lshl_add_u64 v[2:3], v[6:7], 0, s[2:3]
	global_store_dwordx2 v[2:3], v[8:9], off
	v_accvgpr_read_b32 v9, a7
	v_accvgpr_read_b32 v8, a6
	v_mul_f32_e32 v6, v9, v5
	v_fmac_f32_e32 v6, v8, v4
	v_mul_f32_e32 v4, v9, v4
	v_fma_f32 v4, v8, v5, -v4
	ds_read_b64 v[8:9], v192 offset:2688
	v_cvt_f64_f32_e32 v[6:7], v6
	v_cvt_f64_f32_e32 v[4:5], v4
	v_mul_f64 v[6:7], v[6:7], s[0:1]
	v_mul_f64 v[4:5], v[4:5], s[0:1]
	v_cvt_f32_f64_e32 v6, v[6:7]
	v_cvt_f32_f64_e32 v7, v[4:5]
	v_lshl_add_u64 v[2:3], v[2:3], 0, s[2:3]
	global_store_dwordx2 v[2:3], v[6:7], off
	v_accvgpr_read_b32 v7, a5
	v_accvgpr_read_b32 v6, a4
	s_waitcnt lgkmcnt(0)
	v_mul_f32_e32 v4, v7, v9
	v_fmac_f32_e32 v4, v6, v8
	v_cvt_f64_f32_e32 v[4:5], v4
	v_mul_f64 v[4:5], v[4:5], s[0:1]
	v_cvt_f32_f64_e32 v4, v[4:5]
	v_mul_f32_e32 v5, v7, v8
	v_fma_f32 v5, v6, v9, -v5
	v_cvt_f64_f32_e32 v[6:7], v5
	v_mul_f64 v[6:7], v[6:7], s[0:1]
	v_cvt_f32_f64_e32 v5, v[6:7]
	v_lshl_add_u64 v[2:3], v[2:3], 0, s[2:3]
	global_store_dwordx2 v[2:3], v[4:5], off
	s_and_b64 exec, exec, vcc
	s_cbranch_execz .LBB0_15
; %bb.14:
	v_accvgpr_read_b32 v19, a3
	v_accvgpr_read_b32 v18, a2
	global_load_dwordx2 v[8:9], v[18:19], off offset:136
	ds_read2_b64 v[4:7], v192 offset0:17 offset1:38
	v_mov_b32_e32 v10, 0xfffff608
	v_mad_u64_u32 v[2:3], s[6:7], s4, v10, v[2:3]
	s_mul_i32 s8, s5, 0xfffff608
	s_sub_i32 s6, s8, s4
	v_add_u32_e32 v3, s6, v3
	v_or_b32_e32 v11, 0x50, v14
	v_mov_b32_e32 v12, 0x150
	s_waitcnt vmcnt(0) lgkmcnt(0)
	v_mul_f32_e32 v10, v5, v9
	v_mul_f32_e32 v9, v4, v9
	v_fmac_f32_e32 v10, v4, v8
	v_fma_f32 v8, v8, v5, -v9
	v_cvt_f64_f32_e32 v[4:5], v10
	v_cvt_f64_f32_e32 v[8:9], v8
	v_mul_f64 v[4:5], v[4:5], s[0:1]
	v_mul_f64 v[8:9], v[8:9], s[0:1]
	v_cvt_f32_f64_e32 v4, v[4:5]
	v_cvt_f32_f64_e32 v5, v[8:9]
	global_store_dwordx2 v[2:3], v[4:5], off
	global_load_dwordx2 v[4:5], v[18:19], off offset:304
	v_lshl_add_u64 v[8:9], v[2:3], 0, s[2:3]
	s_waitcnt vmcnt(0)
	v_mul_f32_e32 v2, v7, v5
	v_mul_f32_e32 v3, v6, v5
	v_fmac_f32_e32 v2, v6, v4
	v_fma_f32 v4, v4, v7, -v3
	v_cvt_f64_f32_e32 v[2:3], v2
	v_cvt_f64_f32_e32 v[4:5], v4
	v_mul_f64 v[2:3], v[2:3], s[0:1]
	v_mul_f64 v[4:5], v[4:5], s[0:1]
	v_cvt_f32_f64_e32 v2, v[2:3]
	v_cvt_f32_f64_e32 v3, v[4:5]
	global_store_dwordx2 v[8:9], v[2:3], off
	global_load_dwordx2 v[6:7], v[18:19], off offset:472
	ds_read2_b64 v[2:5], v192 offset0:59 offset1:80
	v_lshl_add_u64 v[8:9], v[8:9], 0, s[2:3]
	s_waitcnt vmcnt(0) lgkmcnt(0)
	v_mul_f32_e32 v10, v3, v7
	v_mul_f32_e32 v7, v2, v7
	v_fmac_f32_e32 v10, v2, v6
	v_fma_f32 v6, v6, v3, -v7
	v_cvt_f64_f32_e32 v[2:3], v10
	v_cvt_f64_f32_e32 v[6:7], v6
	v_mul_f64 v[2:3], v[2:3], s[0:1]
	v_mul_f64 v[6:7], v[6:7], s[0:1]
	v_cvt_f32_f64_e32 v2, v[2:3]
	v_cvt_f32_f64_e32 v3, v[6:7]
	global_store_dwordx2 v[8:9], v[2:3], off
	global_load_dwordx2 v[2:3], v[18:19], off offset:640
	v_mad_u64_u32 v[6:7], s[6:7], s4, v11, 0
	v_mov_b32_e32 v10, v7
	v_mad_u64_u32 v[10:11], s[6:7], s5, v11, v[10:11]
	v_mov_b32_e32 v7, v10
	v_lshl_add_u64 v[6:7], v[6:7], 3, v[0:1]
	s_mul_i32 s6, s5, 0x150
	v_mad_u64_u32 v[8:9], s[8:9], s4, v12, v[8:9]
	v_add_u32_e32 v9, s6, v9
	v_or_b32_e32 v11, 0xa4, v14
	s_waitcnt vmcnt(0)
	v_mul_f32_e32 v10, v5, v3
	v_mul_f32_e32 v3, v4, v3
	v_fmac_f32_e32 v10, v4, v2
	v_fma_f32 v4, v2, v5, -v3
	v_cvt_f64_f32_e32 v[2:3], v10
	v_cvt_f64_f32_e32 v[4:5], v4
	v_mul_f64 v[2:3], v[2:3], s[0:1]
	v_mul_f64 v[4:5], v[4:5], s[0:1]
	v_cvt_f32_f64_e32 v2, v[2:3]
	v_cvt_f32_f64_e32 v3, v[4:5]
	global_store_dwordx2 v[6:7], v[2:3], off
	global_load_dwordx2 v[6:7], v[18:19], off offset:808
	ds_read2_b64 v[2:5], v192 offset0:101 offset1:122
	s_waitcnt vmcnt(0) lgkmcnt(0)
	v_mul_f32_e32 v10, v3, v7
	v_mul_f32_e32 v7, v2, v7
	v_fmac_f32_e32 v10, v2, v6
	v_fma_f32 v6, v6, v3, -v7
	v_cvt_f64_f32_e32 v[2:3], v10
	v_cvt_f64_f32_e32 v[6:7], v6
	v_mul_f64 v[2:3], v[2:3], s[0:1]
	v_mul_f64 v[6:7], v[6:7], s[0:1]
	v_cvt_f32_f64_e32 v2, v[2:3]
	v_cvt_f32_f64_e32 v3, v[6:7]
	global_store_dwordx2 v[8:9], v[2:3], off
	global_load_dwordx2 v[2:3], v[18:19], off offset:976
	v_lshl_add_u64 v[6:7], v[8:9], 0, s[2:3]
	s_waitcnt vmcnt(0)
	v_mul_f32_e32 v8, v5, v3
	v_mul_f32_e32 v3, v4, v3
	v_fmac_f32_e32 v8, v4, v2
	v_fma_f32 v4, v2, v5, -v3
	v_cvt_f64_f32_e32 v[2:3], v8
	v_cvt_f64_f32_e32 v[4:5], v4
	v_mul_f64 v[2:3], v[2:3], s[0:1]
	v_mul_f64 v[4:5], v[4:5], s[0:1]
	v_cvt_f32_f64_e32 v2, v[2:3]
	v_cvt_f32_f64_e32 v3, v[4:5]
	global_store_dwordx2 v[6:7], v[2:3], off
	global_load_dwordx2 v[8:9], v[18:19], off offset:1144
	ds_read2_b64 v[2:5], v192 offset0:143 offset1:164
	v_lshl_add_u64 v[6:7], v[6:7], 0, s[2:3]
	s_waitcnt vmcnt(0) lgkmcnt(0)
	v_mul_f32_e32 v10, v3, v9
	v_mul_f32_e32 v9, v2, v9
	v_fmac_f32_e32 v10, v2, v8
	v_fma_f32 v8, v8, v3, -v9
	v_cvt_f64_f32_e32 v[2:3], v10
	v_cvt_f64_f32_e32 v[8:9], v8
	v_mul_f64 v[2:3], v[2:3], s[0:1]
	v_mul_f64 v[8:9], v[8:9], s[0:1]
	v_cvt_f32_f64_e32 v2, v[2:3]
	v_cvt_f32_f64_e32 v3, v[8:9]
	global_store_dwordx2 v[6:7], v[2:3], off
	global_load_dwordx2 v[2:3], v[18:19], off offset:1312
	v_mad_u64_u32 v[8:9], s[8:9], s4, v11, 0
	v_mov_b32_e32 v10, v9
	v_mad_u64_u32 v[10:11], s[8:9], s5, v11, v[10:11]
	v_mov_b32_e32 v9, v10
	v_lshl_add_u64 v[8:9], v[8:9], 3, v[0:1]
	v_mad_u64_u32 v[6:7], s[8:9], s4, v12, v[6:7]
	v_add_u32_e32 v7, s6, v7
	v_or_b32_e32 v11, 0xf8, v14
	s_waitcnt vmcnt(0)
	v_mul_f32_e32 v10, v5, v3
	v_mul_f32_e32 v3, v4, v3
	v_fmac_f32_e32 v10, v4, v2
	v_fma_f32 v4, v2, v5, -v3
	v_cvt_f64_f32_e32 v[2:3], v10
	v_cvt_f64_f32_e32 v[4:5], v4
	v_mul_f64 v[2:3], v[2:3], s[0:1]
	v_mul_f64 v[4:5], v[4:5], s[0:1]
	v_cvt_f32_f64_e32 v2, v[2:3]
	v_cvt_f32_f64_e32 v3, v[4:5]
	global_store_dwordx2 v[8:9], v[2:3], off
	global_load_dwordx2 v[8:9], v[18:19], off offset:1480
	ds_read2_b64 v[2:5], v192 offset0:185 offset1:206
	s_waitcnt vmcnt(0) lgkmcnt(0)
	v_mul_f32_e32 v10, v3, v9
	v_mul_f32_e32 v9, v2, v9
	v_fmac_f32_e32 v10, v2, v8
	v_fma_f32 v8, v8, v3, -v9
	v_cvt_f64_f32_e32 v[2:3], v10
	v_cvt_f64_f32_e32 v[8:9], v8
	v_mul_f64 v[2:3], v[2:3], s[0:1]
	v_mul_f64 v[8:9], v[8:9], s[0:1]
	v_cvt_f32_f64_e32 v2, v[2:3]
	v_cvt_f32_f64_e32 v3, v[8:9]
	global_store_dwordx2 v[6:7], v[2:3], off
	global_load_dwordx2 v[2:3], v[18:19], off offset:1648
	v_lshl_add_u64 v[6:7], v[6:7], 0, s[2:3]
	s_waitcnt vmcnt(0)
	v_mul_f32_e32 v8, v5, v3
	v_mul_f32_e32 v3, v4, v3
	v_fmac_f32_e32 v8, v4, v2
	v_fma_f32 v4, v2, v5, -v3
	v_cvt_f64_f32_e32 v[2:3], v8
	v_cvt_f64_f32_e32 v[4:5], v4
	v_mul_f64 v[2:3], v[2:3], s[0:1]
	v_mul_f64 v[4:5], v[4:5], s[0:1]
	v_cvt_f32_f64_e32 v2, v[2:3]
	v_cvt_f32_f64_e32 v3, v[4:5]
	global_store_dwordx2 v[6:7], v[2:3], off
	global_load_dwordx2 v[8:9], v[18:19], off offset:1816
	ds_read2_b64 v[2:5], v192 offset0:227 offset1:248
	v_lshl_add_u64 v[6:7], v[6:7], 0, s[2:3]
	s_waitcnt vmcnt(0) lgkmcnt(0)
	v_mul_f32_e32 v10, v3, v9
	v_mul_f32_e32 v9, v2, v9
	v_fmac_f32_e32 v10, v2, v8
	v_fma_f32 v8, v8, v3, -v9
	v_cvt_f64_f32_e32 v[2:3], v10
	v_cvt_f64_f32_e32 v[8:9], v8
	v_mul_f64 v[2:3], v[2:3], s[0:1]
	v_mul_f64 v[8:9], v[8:9], s[0:1]
	v_cvt_f32_f64_e32 v2, v[2:3]
	v_cvt_f32_f64_e32 v3, v[8:9]
	global_store_dwordx2 v[6:7], v[2:3], off
	global_load_dwordx2 v[2:3], v[18:19], off offset:1984
	v_mad_u64_u32 v[8:9], s[8:9], s4, v11, 0
	v_mov_b32_e32 v10, v9
	v_mad_u64_u32 v[10:11], s[8:9], s5, v11, v[10:11]
	v_mov_b32_e32 v9, v10
	v_lshl_add_u64 v[8:9], v[8:9], 3, v[0:1]
	;; [unrolled: 64-line block ×3, first 2 shown]
	s_waitcnt vmcnt(0)
	v_mul_f32_e32 v8, v5, v3
	v_mul_f32_e32 v3, v4, v3
	v_fmac_f32_e32 v8, v4, v2
	v_fma_f32 v4, v2, v5, -v3
	v_cvt_f64_f32_e32 v[2:3], v8
	v_cvt_f64_f32_e32 v[4:5], v4
	v_mul_f64 v[2:3], v[2:3], s[0:1]
	v_mul_f64 v[4:5], v[4:5], s[0:1]
	v_cvt_f32_f64_e32 v2, v[2:3]
	v_cvt_f32_f64_e32 v3, v[4:5]
	global_store_dwordx2 v[0:1], v[2:3], off
	global_load_dwordx2 v[0:1], v[18:19], off offset:2824
	ds_read_b64 v[2:3], v192 offset:2824
	v_mad_u64_u32 v[4:5], s[2:3], s4, v12, v[6:7]
	v_add_u32_e32 v5, s6, v5
	s_waitcnt vmcnt(0) lgkmcnt(0)
	v_mul_f32_e32 v6, v3, v1
	v_mul_f32_e32 v1, v2, v1
	v_fmac_f32_e32 v6, v2, v0
	v_fma_f32 v2, v0, v3, -v1
	v_cvt_f64_f32_e32 v[0:1], v6
	v_cvt_f64_f32_e32 v[2:3], v2
	v_mul_f64 v[0:1], v[0:1], s[0:1]
	v_mul_f64 v[2:3], v[2:3], s[0:1]
	v_cvt_f32_f64_e32 v0, v[0:1]
	v_cvt_f32_f64_e32 v1, v[2:3]
	global_store_dwordx2 v[4:5], v[0:1], off
.LBB0_15:
	s_endpgm
	.section	.rodata,"a",@progbits
	.p2align	6, 0x0
	.amdhsa_kernel bluestein_single_fwd_len357_dim1_sp_op_CI_CI
		.amdhsa_group_segment_fixed_size 31416
		.amdhsa_private_segment_fixed_size 0
		.amdhsa_kernarg_size 104
		.amdhsa_user_sgpr_count 2
		.amdhsa_user_sgpr_dispatch_ptr 0
		.amdhsa_user_sgpr_queue_ptr 0
		.amdhsa_user_sgpr_kernarg_segment_ptr 1
		.amdhsa_user_sgpr_dispatch_id 0
		.amdhsa_user_sgpr_kernarg_preload_length 0
		.amdhsa_user_sgpr_kernarg_preload_offset 0
		.amdhsa_user_sgpr_private_segment_size 0
		.amdhsa_uses_dynamic_stack 0
		.amdhsa_enable_private_segment 0
		.amdhsa_system_sgpr_workgroup_id_x 1
		.amdhsa_system_sgpr_workgroup_id_y 0
		.amdhsa_system_sgpr_workgroup_id_z 0
		.amdhsa_system_sgpr_workgroup_info 0
		.amdhsa_system_vgpr_workitem_id 0
		.amdhsa_next_free_vgpr 442
		.amdhsa_next_free_sgpr 76
		.amdhsa_accum_offset 256
		.amdhsa_reserve_vcc 1
		.amdhsa_float_round_mode_32 0
		.amdhsa_float_round_mode_16_64 0
		.amdhsa_float_denorm_mode_32 3
		.amdhsa_float_denorm_mode_16_64 3
		.amdhsa_dx10_clamp 1
		.amdhsa_ieee_mode 1
		.amdhsa_fp16_overflow 0
		.amdhsa_tg_split 0
		.amdhsa_exception_fp_ieee_invalid_op 0
		.amdhsa_exception_fp_denorm_src 0
		.amdhsa_exception_fp_ieee_div_zero 0
		.amdhsa_exception_fp_ieee_overflow 0
		.amdhsa_exception_fp_ieee_underflow 0
		.amdhsa_exception_fp_ieee_inexact 0
		.amdhsa_exception_int_div_zero 0
	.end_amdhsa_kernel
	.text
.Lfunc_end0:
	.size	bluestein_single_fwd_len357_dim1_sp_op_CI_CI, .Lfunc_end0-bluestein_single_fwd_len357_dim1_sp_op_CI_CI
                                        ; -- End function
	.section	.AMDGPU.csdata,"",@progbits
; Kernel info:
; codeLenInByte = 34880
; NumSgprs: 82
; NumVgprs: 256
; NumAgprs: 186
; TotalNumVgprs: 442
; ScratchSize: 0
; MemoryBound: 0
; FloatMode: 240
; IeeeMode: 1
; LDSByteSize: 31416 bytes/workgroup (compile time only)
; SGPRBlocks: 10
; VGPRBlocks: 55
; NumSGPRsForWavesPerEU: 82
; NumVGPRsForWavesPerEU: 442
; AccumOffset: 256
; Occupancy: 1
; WaveLimiterHint : 1
; COMPUTE_PGM_RSRC2:SCRATCH_EN: 0
; COMPUTE_PGM_RSRC2:USER_SGPR: 2
; COMPUTE_PGM_RSRC2:TRAP_HANDLER: 0
; COMPUTE_PGM_RSRC2:TGID_X_EN: 1
; COMPUTE_PGM_RSRC2:TGID_Y_EN: 0
; COMPUTE_PGM_RSRC2:TGID_Z_EN: 0
; COMPUTE_PGM_RSRC2:TIDIG_COMP_CNT: 0
; COMPUTE_PGM_RSRC3_GFX90A:ACCUM_OFFSET: 63
; COMPUTE_PGM_RSRC3_GFX90A:TG_SPLIT: 0
	.text
	.p2alignl 6, 3212836864
	.fill 256, 4, 3212836864
	.type	__hip_cuid_edf1ae047f68db37,@object ; @__hip_cuid_edf1ae047f68db37
	.section	.bss,"aw",@nobits
	.globl	__hip_cuid_edf1ae047f68db37
__hip_cuid_edf1ae047f68db37:
	.byte	0                               ; 0x0
	.size	__hip_cuid_edf1ae047f68db37, 1

	.ident	"AMD clang version 19.0.0git (https://github.com/RadeonOpenCompute/llvm-project roc-6.4.0 25133 c7fe45cf4b819c5991fe208aaa96edf142730f1d)"
	.section	".note.GNU-stack","",@progbits
	.addrsig
	.addrsig_sym __hip_cuid_edf1ae047f68db37
	.amdgpu_metadata
---
amdhsa.kernels:
  - .agpr_count:     186
    .args:
      - .actual_access:  read_only
        .address_space:  global
        .offset:         0
        .size:           8
        .value_kind:     global_buffer
      - .actual_access:  read_only
        .address_space:  global
        .offset:         8
        .size:           8
        .value_kind:     global_buffer
      - .actual_access:  read_only
        .address_space:  global
        .offset:         16
        .size:           8
        .value_kind:     global_buffer
      - .actual_access:  read_only
        .address_space:  global
        .offset:         24
        .size:           8
        .value_kind:     global_buffer
      - .actual_access:  read_only
        .address_space:  global
        .offset:         32
        .size:           8
        .value_kind:     global_buffer
      - .offset:         40
        .size:           8
        .value_kind:     by_value
      - .address_space:  global
        .offset:         48
        .size:           8
        .value_kind:     global_buffer
      - .address_space:  global
        .offset:         56
        .size:           8
        .value_kind:     global_buffer
      - .address_space:  global
        .offset:         64
        .size:           8
        .value_kind:     global_buffer
      - .address_space:  global
        .offset:         72
        .size:           8
        .value_kind:     global_buffer
      - .offset:         80
        .size:           4
        .value_kind:     by_value
      - .address_space:  global
        .offset:         88
        .size:           8
        .value_kind:     global_buffer
      - .address_space:  global
        .offset:         96
        .size:           8
        .value_kind:     global_buffer
    .group_segment_fixed_size: 31416
    .kernarg_segment_align: 8
    .kernarg_segment_size: 104
    .language:       OpenCL C
    .language_version:
      - 2
      - 0
    .max_flat_workgroup_size: 187
    .name:           bluestein_single_fwd_len357_dim1_sp_op_CI_CI
    .private_segment_fixed_size: 0
    .sgpr_count:     82
    .sgpr_spill_count: 0
    .symbol:         bluestein_single_fwd_len357_dim1_sp_op_CI_CI.kd
    .uniform_work_group_size: 1
    .uses_dynamic_stack: false
    .vgpr_count:     442
    .vgpr_spill_count: 0
    .wavefront_size: 64
amdhsa.target:   amdgcn-amd-amdhsa--gfx950
amdhsa.version:
  - 1
  - 2
...

	.end_amdgpu_metadata
